;; amdgpu-corpus repo=vllm-project/vllm kind=triton arch=gfx90a opt=O3 lang=triton
	.amdgcn_target "amdgcn-amd-amdhsa--gfx90a"
	.amdhsa_code_object_version 5
	.text
	.globl	_w8a8_triton_block_scaled_mm    ; -- Begin function _w8a8_triton_block_scaled_mm
	.p2align	8
	.type	_w8a8_triton_block_scaled_mm,@function
_w8a8_triton_block_scaled_mm:           ; @_w8a8_triton_block_scaled_mm
.Lfunc_begin0:
	.cfi_sections .debug_frame
	.cfi_startproc
; %bb.261:
	.file	1 "/root/src/amdgpu-assembly/repos/vllm-project__vllm/triton_aot_kernels" "fp8_utils_aot.py"
	.loc	1 8 0 prologue_end              ; fp8_utils_aot.py:8:0
	s_load_dwordx2 s[6:7], s[4:5], 0x0
	s_load_dwordx8 s[8:15], s[4:5], 0x8
	s_waitcnt lgkmcnt(0)
	s_branch .LBB0_0
	.loc	1 0 0 is_stmt 0                 ; :0:0
.Ltmp0:
	.p2align	8
; %bb.262:
.LBB0_0:
	s_load_dwordx2 s[42:43], s[4:5], 0x28
	s_load_dword s60, s[4:5], 0x30
	s_mov_b64 s[58:59], s[6:7]
.Ltmp1:
	.loc	1 48 22 is_stmt 1               ; fp8_utils_aot.py:48:22
	s_abs_i32 s18, s16
	s_ashr_i32 s17, s16, 31
.Ltmp2:
	.file	2 "/root/.local/lib/python3.13/site-packages/triton/language" "standard.py"
	.loc	2 43 17                         ; standard.py:43:17 @[ fp8_utils_aot.py:46:27 ]
	s_waitcnt lgkmcnt(0)
	s_add_i32 s1, s43, 0x7f
	.loc	2 43 30 is_stmt 0               ; standard.py:43:30 @[ fp8_utils_aot.py:46:27 ]
	s_ashr_i32 s2, s1, 31
	s_lshr_b32 s2, s2, 25
	s_add_i32 s1, s1, s2
	s_ashr_i32 s1, s1, 7
.Ltmp3:
	.loc	1 47 38 is_stmt 1               ; fp8_utils_aot.py:47:38
	s_lshl_b32 s2, s1, 3
	.loc	1 48 22                         ; fp8_utils_aot.py:48:22
	s_abs_i32 s3, s2
	v_cvt_f32_u32_e32 v1, s3
.Ltmp4:
	.loc	2 43 17                         ; standard.py:43:17 @[ fp8_utils_aot.py:45:27 ]
	s_add_i32 s0, s42, 63
	.loc	2 43 30 is_stmt 0               ; standard.py:43:30 @[ fp8_utils_aot.py:45:27 ]
	s_ashr_i32 s6, s0, 31
	s_lshr_b32 s6, s6, 26
.Ltmp5:
	.loc	1 48 22 is_stmt 1               ; fp8_utils_aot.py:48:22
	v_rcp_iflag_f32_e32 v1, v1
.Ltmp6:
	.loc	2 43 30                         ; standard.py:43:30 @[ fp8_utils_aot.py:45:27 ]
	s_add_i32 s0, s0, s6
.Ltmp7:
	.loc	1 48 22                         ; fp8_utils_aot.py:48:22
	s_sub_i32 s6, 0, s3
	s_bfe_i32 s1, s1, 0x1001c
	v_mul_f32_e32 v1, 0x4f7ffffe, v1
	v_cvt_u32_f32_e32 v1, v1
.Ltmp8:
	.loc	2 43 30                         ; standard.py:43:30 @[ fp8_utils_aot.py:45:27 ]
	s_ashr_i32 s0, s0, 6
.Ltmp9:
	.loc	1 48 22                         ; fp8_utils_aot.py:48:22
	s_xor_b32 s1, s17, s1
	.loc	1 55 51                         ; fp8_utils_aot.py:55:51
	v_and_b32_e32 v17, 32, v0
	.loc	1 48 22                         ; fp8_utils_aot.py:48:22
	v_readfirstlane_b32 s7, v1
	s_mul_i32 s6, s6, s7
	s_mul_hi_u32 s6, s7, s6
	s_add_i32 s7, s7, s6
	s_mul_hi_u32 s6, s18, s7
	s_mul_i32 s7, s6, s3
	s_sub_i32 s7, s18, s7
	s_add_i32 s19, s6, 1
	s_sub_i32 s20, s7, s3
	s_cmp_ge_u32 s7, s3
	s_cselect_b32 s6, s19, s6
	s_cselect_b32 s7, s20, s7
	s_add_i32 s19, s6, 1
	s_cmp_ge_u32 s7, s3
	s_cselect_b32 s3, s19, s6
	s_xor_b32 s3, s3, s1
	s_sub_i32 s1, s3, s1
	.loc	1 49 29                         ; fp8_utils_aot.py:49:29
	s_lshl_b32 s47, s1, 3
	.loc	1 50 35                         ; fp8_utils_aot.py:50:35
	s_sub_i32 s0, s0, s47
	.loc	1 50 48 is_stmt 0               ; fp8_utils_aot.py:50:48
	s_min_i32 s0, s0, 8
	.loc	1 51 33 is_stmt 1               ; fp8_utils_aot.py:51:33
	s_abs_i32 s3, s0
	v_cvt_f32_u32_e32 v1, s3
	s_sub_i32 s6, 0, s3
	.loc	1 52 19                         ; fp8_utils_aot.py:52:19
	s_mul_i32 s1, s1, s2
	s_mov_b32 s61, 0
	.loc	1 51 33                         ; fp8_utils_aot.py:51:33
	v_rcp_iflag_f32_e32 v1, v1
	v_mov_b32_e32 v233, 0
	v_mov_b32_e32 v232, 0
	;; [unrolled: 1-line block ×3, first 2 shown]
	v_mul_f32_e32 v1, 0x4f7ffffe, v1
	v_cvt_u32_f32_e32 v1, v1
	v_mov_b32_e32 v202, 0
	v_mov_b32_e32 v175, 0
	;; [unrolled: 1-line block ×3, first 2 shown]
	v_readfirstlane_b32 s7, v1
	s_mul_i32 s6, s6, s7
	s_mul_hi_u32 s6, s7, s6
	s_add_i32 s7, s7, s6
	s_mul_hi_u32 s6, s18, s7
	s_mul_i32 s6, s6, s3
	s_sub_i32 s18, s18, s6
	s_sub_i32 s6, s18, s3
	s_cmp_ge_u32 s18, s3
	s_cselect_b32 s18, s6, s18
	s_sub_i32 s6, s18, s3
	s_cmp_ge_u32 s18, s3
	s_cselect_b32 s6, s6, s18
	.loc	1 52 19                         ; fp8_utils_aot.py:52:19
	s_sub_i32 s1, s16, s1
	.loc	1 51 33                         ; fp8_utils_aot.py:51:33
	s_xor_b32 s6, s6, s17
	.loc	1 52 40                         ; fp8_utils_aot.py:52:40
	s_xor_b32 s0, s1, s0
	s_abs_i32 s1, s1
	.loc	1 51 33                         ; fp8_utils_aot.py:51:33
	s_sub_i32 s6, s6, s17
	.loc	1 52 40                         ; fp8_utils_aot.py:52:40
	s_mul_hi_u32 s2, s1, s7
	.loc	1 51 27                         ; fp8_utils_aot.py:51:27
	s_add_i32 s47, s47, s6
	.loc	1 52 40                         ; fp8_utils_aot.py:52:40
	s_mul_i32 s6, s2, s3
	s_sub_i32 s1, s1, s6
	s_ashr_i32 s0, s0, 31
	s_add_i32 s6, s2, 1
	s_sub_i32 s7, s1, s3
	s_cmp_ge_u32 s1, s3
	s_cselect_b32 s2, s6, s2
	s_cselect_b32 s1, s7, s1
	s_add_i32 s6, s2, 1
	s_cmp_ge_u32 s1, s3
	s_cselect_b32 s1, s6, s2
	.loc	1 55 68                         ; fp8_utils_aot.py:55:68
	s_abs_i32 s46, s43
	v_cvt_f32_u32_e32 v2, s46
	.loc	1 52 40                         ; fp8_utils_aot.py:52:40
	s_xor_b32 s1, s1, s0
	s_sub_i32 s0, s1, s0
	.loc	1 55 51                         ; fp8_utils_aot.py:55:51
	v_lshrrev_b32_e32 v1, 1, v0
	.loc	1 55 68 is_stmt 0               ; fp8_utils_aot.py:55:68
	v_rcp_iflag_f32_e32 v2, v2
	.loc	1 55 23                         ; fp8_utils_aot.py:55:23
	s_lshl_b32 s48, s0, 7
	.loc	1 55 51                         ; fp8_utils_aot.py:55:51
	v_and_b32_e32 v16, 0x60, v1
	v_lshrrev_b32_e32 v1, 3, v17
	.loc	1 55 68                         ; fp8_utils_aot.py:55:68
	v_mul_f32_e32 v2, 0x4f7ffffe, v2
	v_cvt_u32_f32_e32 v2, v2
	s_bfe_i32 s56, s0, 0x10018
	s_sub_i32 s0, 0, s46
	.loc	1 55 38                         ; fp8_utils_aot.py:55:38
	v_or3_b32 v252, v1, v16, s48
	.loc	1 55 68                         ; fp8_utils_aot.py:55:68
	v_mul_lo_u32 v4, s0, v2
	v_add_u32_e32 v3, s56, v252
	v_mul_hi_u32 v4, v2, v4
	v_xor_b32_e32 v3, s56, v3
	v_add_u32_e32 v2, v2, v4
	v_mul_hi_u32 v4, v3, v2
	v_mul_lo_u32 v4, v4, s46
	v_sub_u32_e32 v3, v3, v4
	.loc	1 55 38                         ; fp8_utils_aot.py:55:38
	v_or_b32_e32 v5, 1, v252
	.loc	1 55 68                         ; fp8_utils_aot.py:55:68
	v_subrev_u32_e32 v4, s46, v3
	v_cmp_le_u32_e32 vcc, s46, v3
	v_cndmask_b32_e32 v3, v3, v4, vcc
	v_add_u32_e32 v4, s56, v5
	v_xor_b32_e32 v4, s56, v4
	v_accvgpr_write_b32 a15, v5
	v_mul_hi_u32 v5, v4, v2
	v_mul_lo_u32 v5, v5, s46
	v_sub_u32_e32 v4, v4, v5
	.loc	1 55 38                         ; fp8_utils_aot.py:55:38
	v_or_b32_e32 v6, 2, v252
	.loc	1 55 68                         ; fp8_utils_aot.py:55:68
	v_subrev_u32_e32 v5, s46, v4
	v_cmp_le_u32_e64 s[0:1], s46, v4
	v_cndmask_b32_e64 v4, v4, v5, s[0:1]
	v_add_u32_e32 v5, s56, v6
	v_xor_b32_e32 v5, s56, v5
	v_accvgpr_write_b32 a14, v6
	v_mul_hi_u32 v6, v5, v2
	v_mul_lo_u32 v6, v6, s46
	v_sub_u32_e32 v5, v5, v6
	.loc	1 55 38                         ; fp8_utils_aot.py:55:38
	v_or_b32_e32 v7, 3, v252
	.loc	1 55 68                         ; fp8_utils_aot.py:55:68
	v_subrev_u32_e32 v6, s46, v5
	v_cmp_le_u32_e64 s[2:3], s46, v5
	v_cndmask_b32_e64 v5, v5, v6, s[2:3]
	;; [unrolled: 12-line block ×13, first 2 shown]
	v_add_u32_e32 v18, s56, v21
	v_xor_b32_e32 v18, s56, v18
	v_mul_hi_u32 v19, v18, v2
	v_mul_lo_u32 v19, v19, s46
	v_sub_u32_e32 v18, v18, v19
	.loc	1 55 38                         ; fp8_utils_aot.py:55:38
	v_or_b32_e32 v22, 27, v252
	.loc	1 55 68                         ; fp8_utils_aot.py:55:68
	v_subrev_u32_e32 v19, s46, v18
	v_cmp_le_u32_e64 s[6:7], s46, v18
	v_accvgpr_write_b32 a1, v21
	v_cndmask_b32_e64 v21, v18, v19, s[6:7]
	v_add_u32_e32 v18, s56, v22
	v_xor_b32_e32 v18, s56, v18
	v_mul_hi_u32 v19, v18, v2
	v_mul_lo_u32 v19, v19, s46
	v_sub_u32_e32 v18, v18, v19
	v_subrev_u32_e32 v19, s46, v18
	v_cmp_le_u32_e64 s[6:7], s46, v18
	.loc	1 54 23 is_stmt 1               ; fp8_utils_aot.py:54:23
	s_lshl_b32 s57, s47, 6
	v_accvgpr_write_b32 a0, v22
	.loc	1 55 68                         ; fp8_utils_aot.py:55:68
	v_cndmask_b32_e64 v22, v18, v19, s[6:7]
	.loc	1 54 51                         ; fp8_utils_aot.py:54:51
	v_and_b32_e32 v18, 31, v0
.Ltmp10:
	.loc	2 43 17                         ; standard.py:43:17 @[ fp8_utils_aot.py:65:33 ]
	s_add_i32 s44, s60, 0x7f
.Ltmp11:
	.loc	1 54 38                         ; fp8_utils_aot.py:54:38
	v_or_b32_e32 v23, s57, v18
	.loc	1 55 68                         ; fp8_utils_aot.py:55:68
	v_cmp_le_u32_e32 vcc, s46, v3
	v_cmp_le_u32_e64 s[0:1], s46, v4
	v_cmp_le_u32_e64 s[2:3], s46, v5
	;; [unrolled: 1-line block ×15, first 2 shown]
	.loc	1 65 22                         ; fp8_utils_aot.py:65:22
	s_cmpk_lt_i32 s44, 0x80
	v_mov_b32_e32 v157, 0
	v_mov_b32_e32 v156, 0
	;; [unrolled: 1-line block ×26, first 2 shown]
	.loc	1 54 38                         ; fp8_utils_aot.py:54:38
	v_or_b32_e32 v36, 32, v23
	.loc	1 65 22                         ; fp8_utils_aot.py:65:22
	s_cbranch_scc1 .LBB0_196
; %bb.1:                                ; %.lr.ph
	.loc	1 0 0 is_stmt 0                 ; fp8_utils_aot.py:0
	s_abs_i32 s45, s42
	v_cvt_f32_u32_e32 v19, s45
	s_bfe_i32 s47, s47, 0x10019
	v_accvgpr_write_b32 a16, v23
	v_add_u32_e32 v23, s47, v23
	v_rcp_iflag_f32_e32 v19, v19
	s_sub_i32 s49, 0, s45
	v_xor_b32_e32 v34, s47, v23
	v_add_u32_e32 v26, s47, v36
	v_mul_f32_e32 v19, 0x4f7ffffe, v19
	v_cvt_u32_f32_e32 v19, v19
	v_accvgpr_write_b32 a8, v36
	s_load_dwordx4 s[40:43], s[4:5], 0x34
	s_load_dwordx2 s[6:7], s[4:5], 0x44
	v_and_b32_e32 v160, 0x7f, v0
	v_mul_lo_u32 v23, s49, v19
	v_mul_hi_u32 v23, v19, v23
	v_add_u32_e32 v19, v19, v23
	v_mad_u64_u32 v[24:25], s[50:51], v34, v19, 0
	v_xor_b32_e32 v24, s47, v26
	v_mad_u64_u32 v[26:27], s[50:51], v24, v19, 0
	v_subrev_u32_e32 v26, s46, v3
	v_cndmask_b32_e32 v3, v3, v26, vcc
	v_subrev_u32_e32 v26, s46, v4
	v_cndmask_b32_e64 v4, v4, v26, s[0:1]
	v_subrev_u32_e32 v26, s46, v5
	v_cndmask_b32_e64 v5, v5, v26, s[2:3]
	;; [unrolled: 2-line block ×7, first 2 shown]
	v_xor_b32_e32 v10, s56, v10
	v_subrev_u32_e32 v26, s56, v10
	v_subrev_u32_e32 v10, s46, v11
	v_cndmask_b32_e64 v10, v11, v10, s[22:23]
	v_xor_b32_e32 v10, s56, v10
	v_subrev_u32_e32 v35, s56, v10
	v_subrev_u32_e32 v10, s46, v12
	v_cndmask_b32_e64 v10, v12, v10, s[24:25]
	;; [unrolled: 4-line block ×7, first 2 shown]
	v_xor_b32_e32 v10, s56, v10
	s_waitcnt lgkmcnt(0)
	s_abs_i32 s2, s40
	v_subrev_u32_e32 v41, s56, v10
	v_subrev_u32_e32 v10, s46, v22
	v_cvt_f32_u32_e32 v11, s2
	v_cndmask_b32_e64 v10, v22, v10, s[38:39]
	v_or_b32_e32 v23, s48, v160
	v_xor_b32_e32 v10, s56, v10
	v_subrev_u32_e32 v42, s56, v10
	v_add_u32_e32 v10, s56, v23
	v_xor_b32_e32 v43, s56, v10
	v_rcp_iflag_f32_e32 v10, v11
	v_mad_u64_u32 v[20:21], s[0:1], v43, v2, 0
	v_xor_b32_e32 v3, s56, v3
	v_mul_f32_e32 v2, 0x4f7ffffe, v10
	v_cvt_u32_f32_e32 v2, v2
	v_subrev_u32_e32 v3, s56, v3
	v_sub_u32_e32 v10, 0, v3
	s_sub_i32 s0, 0, s2
	v_ashrrev_i32_e32 v44, 31, v3
	v_max_i32_e32 v45, v10, v3
	v_mul_lo_u32 v3, s0, v2
	v_xor_b32_e32 v4, s56, v4
	v_mul_hi_u32 v3, v2, v3
	v_subrev_u32_e32 v4, s56, v4
	v_xor_b32_e32 v5, s56, v5
	v_add_u32_e32 v46, v2, v3
	v_subrev_u32_e32 v5, s56, v5
	v_xor_b32_e32 v6, s56, v6
	v_mad_u64_u32 v[22:23], s[0:1], v45, v46, 0
	v_sub_u32_e32 v2, 0, v4
	v_subrev_u32_e32 v6, s56, v6
	v_xor_b32_e32 v7, s56, v7
	v_max_i32_e32 v22, v2, v4
	v_sub_u32_e32 v2, 0, v5
	v_subrev_u32_e32 v7, s56, v7
	v_xor_b32_e32 v8, s56, v8
	v_max_i32_e32 v48, v2, v5
	;; [unrolled: 4-line block ×3, first 2 shown]
	v_sub_u32_e32 v2, 0, v7
	v_subrev_u32_e32 v9, s56, v9
	v_max_i32_e32 v50, v2, v7
	v_sub_u32_e32 v2, 0, v8
	v_max_i32_e32 v52, v2, v8
	v_sub_u32_e32 v2, 0, v9
	;; [unrolled: 2-line block ×3, first 2 shown]
	v_mad_u64_u32 v[12:13], s[0:1], v52, v46, 0
	v_max_i32_e32 v54, v2, v26
	v_ashrrev_i32_e32 v51, 31, v8
	v_ashrrev_i32_e32 v12, 31, v9
	v_mad_u64_u32 v[8:9], s[0:1], v54, v46, 0
	v_sub_u32_e32 v2, 0, v35
	v_mad_u64_u32 v[30:31], s[0:1], v48, v46, 0
	v_mad_u64_u32 v[32:33], s[0:1], v49, v46, 0
	v_ashrrev_i32_e32 v8, 31, v35
	v_max_i32_e32 v35, v2, v35
	v_ashrrev_i32_e32 v30, 31, v6
	v_ashrrev_i32_e32 v32, 31, v7
	v_mad_u64_u32 v[6:7], s[0:1], v35, v46, 0
	v_sub_u32_e32 v2, 0, v36
	v_mad_u64_u32 v[28:29], s[0:1], v22, v46, 0
	v_ashrrev_i32_e32 v6, 31, v36
	v_max_i32_e32 v36, v2, v36
	v_ashrrev_i32_e32 v47, 31, v4
	v_ashrrev_i32_e32 v28, 31, v5
	v_mad_u64_u32 v[4:5], s[0:1], v36, v46, 0
	v_sub_u32_e32 v2, 0, v37
	v_ashrrev_i32_e32 v4, 31, v37
	v_max_i32_e32 v37, v2, v37
	v_mad_u64_u32 v[2:3], s[0:1], v37, v46, 0
	.loc	1 54 68 is_stmt 1               ; fp8_utils_aot.py:54:68
	v_mul_lo_u32 v2, v25, s45
	.loc	1 0 0 is_stmt 0                 ; fp8_utils_aot.py:0
	v_mad_u64_u32 v[14:15], s[0:1], v50, v46, 0
	.loc	1 54 68                         ; fp8_utils_aot.py:54:68
	v_sub_u32_e32 v2, v34, v2
	v_subrev_u32_e32 v14, s45, v2
	v_cmp_le_u32_e32 vcc, s45, v2
	v_cndmask_b32_e32 v2, v2, v14, vcc
	v_subrev_u32_e32 v14, s45, v2
	v_cmp_le_u32_e32 vcc, s45, v2
	v_cndmask_b32_e32 v2, v2, v14, vcc
	v_xor_b32_e32 v2, s47, v2
	v_subrev_u32_e32 v14, s47, v2
	v_mul_lo_u32 v2, v27, s45
	v_sub_u32_e32 v2, v24, v2
	v_subrev_u32_e32 v20, s45, v2
	v_cmp_le_u32_e32 vcc, s45, v2
	v_cndmask_b32_e32 v2, v2, v20, vcc
                                        ; implicit-def: $vgpr253 : SGPR spill to VGPR lane
	v_subrev_u32_e32 v20, s45, v2
	v_cmp_le_u32_e32 vcc, s45, v2
	v_writelane_b32 v253, s10, 0
	v_cndmask_b32_e32 v2, v2, v20, vcc
	v_writelane_b32 v253, s11, 1
	v_xor_b32_e32 v2, s47, v2
	v_writelane_b32 v253, s4, 2
	s_load_dwordx4 s[64:67], s[4:5], 0x54
	v_subrev_u32_e32 v24, s47, v2
	.loc	1 55 68 is_stmt 1               ; fp8_utils_aot.py:55:68
	v_mul_lo_u32 v2, v21, s46
	v_sub_u32_e32 v2, v43, v2
	v_subrev_u32_e32 v20, s46, v2
	v_cmp_le_u32_e32 vcc, s46, v2
	v_cndmask_b32_e32 v2, v2, v20, vcc
	v_subrev_u32_e32 v20, s46, v2
	v_cmp_le_u32_e32 vcc, s46, v2
	v_cndmask_b32_e32 v2, v2, v20, vcc
	.loc	1 60 29                         ; fp8_utils_aot.py:60:29
	s_waitcnt lgkmcnt(0)
	v_mul_lo_u32 v20, v14, s64
	.loc	1 60 19 is_stmt 0               ; fp8_utils_aot.py:60:19
	v_ashrrev_i32_e32 v21, 31, v20
	v_lshlrev_b64 v[20:21], 2, v[20:21]
	.loc	1 60 29                         ; fp8_utils_aot.py:60:29
	v_mul_lo_u32 v24, v24, s64
	.loc	1 60 19                         ; fp8_utils_aot.py:60:19
	v_mov_b32_e32 v14, s13
	v_add_co_u32_e32 v20, vcc, s12, v20
	v_addc_co_u32_e32 v21, vcc, v14, v21, vcc
	v_ashrrev_i32_e32 v25, 31, v24
	.loc	1 0 0                           ; fp8_utils_aot.py:0
	v_mad_u64_u32 v[10:11], s[0:1], v53, v46, 0
	v_accvgpr_write_b32 a18, v20
	v_accvgpr_write_b32 a17, v21
	.loc	1 60 19                         ; fp8_utils_aot.py:60:19
	v_lshlrev_b64 v[20:21], 2, v[24:25]
	.loc	1 61 26 is_stmt 1               ; fp8_utils_aot.py:61:26
	v_mul_lo_u32 v24, v23, s2
	v_sub_u32_e32 v24, v45, v24
	.loc	1 60 19                         ; fp8_utils_aot.py:60:19
	v_add_co_u32_e64 v20, s[0:1], s12, v20
	.loc	1 61 26                         ; fp8_utils_aot.py:61:26
	v_add_u32_e32 v25, 1, v23
	v_cmp_le_u32_e32 vcc, s2, v24
	.loc	1 60 19                         ; fp8_utils_aot.py:60:19
	v_addc_co_u32_e64 v21, s[0:1], v14, v21, s[0:1]
	.loc	1 61 26                         ; fp8_utils_aot.py:61:26
	v_subrev_u32_e32 v14, s2, v24
	v_cndmask_b32_e32 v23, v23, v25, vcc
	v_cndmask_b32_e32 v14, v24, v14, vcc
	v_accvgpr_write_b32 a20, v20
	v_add_u32_e32 v20, 1, v23
	v_cmp_le_u32_e32 vcc, s2, v14
	v_cndmask_b32_e32 v14, v23, v20, vcc
	v_mul_lo_u32 v20, v29, s2
	v_accvgpr_write_b32 a19, v21
	.loc	1 0 0 is_stmt 0                 ; fp8_utils_aot.py:0
	v_sub_u32_e32 v21, 0, v38
	.loc	1 61 26                         ; fp8_utils_aot.py:61:26
	v_sub_u32_e32 v22, v22, v20
	.loc	1 0 0                           ; fp8_utils_aot.py:0
	v_max_i32_e32 v34, v21, v38
	.loc	1 61 26                         ; fp8_utils_aot.py:61:26
	v_add_u32_e32 v20, 1, v29
	v_cmp_le_u32_e32 vcc, s2, v22
	.loc	1 0 0                           ; fp8_utils_aot.py:0
	s_ashr_i32 s3, s40, 31
	.loc	1 61 26                         ; fp8_utils_aot.py:61:26
	v_cndmask_b32_e32 v23, v29, v20, vcc
	.loc	1 0 0                           ; fp8_utils_aot.py:0
	v_mad_u64_u32 v[20:21], s[0:1], v34, v46, 0
	.loc	1 61 26                         ; fp8_utils_aot.py:61:26
	v_xor_b32_e32 v20, s3, v44
	v_xor_b32_e32 v14, v14, v20
	v_sub_u32_e32 v20, v14, v20
	v_subrev_u32_e32 v14, s2, v22
	v_cndmask_b32_e32 v14, v22, v14, vcc
	v_add_u32_e32 v22, 1, v23
	v_cmp_le_u32_e32 vcc, s2, v14
	.loc	1 0 0                           ; fp8_utils_aot.py:0
	v_sub_u32_e32 v24, 0, v39
	.loc	1 61 26                         ; fp8_utils_aot.py:61:26
	v_cndmask_b32_e32 v14, v23, v22, vcc
	v_mul_lo_u32 v22, v31, s2
	.loc	1 0 0                           ; fp8_utils_aot.py:0
	v_max_i32_e32 v29, v24, v39
	.loc	1 61 26                         ; fp8_utils_aot.py:61:26
	v_sub_u32_e32 v24, v48, v22
	v_add_u32_e32 v22, 1, v31
	v_cmp_le_u32_e32 vcc, s2, v24
	v_cndmask_b32_e32 v25, v31, v22, vcc
	.loc	1 0 0                           ; fp8_utils_aot.py:0
	v_mad_u64_u32 v[22:23], s[0:1], v29, v46, 0
	.loc	1 61 26                         ; fp8_utils_aot.py:61:26
	v_xor_b32_e32 v22, s3, v47
	v_xor_b32_e32 v14, v14, v22
	v_sub_u32_e32 v22, v14, v22
	v_subrev_u32_e32 v14, s2, v24
	v_cndmask_b32_e32 v14, v24, v14, vcc
	v_add_u32_e32 v24, 1, v25
	v_cmp_le_u32_e32 vcc, s2, v14
	.loc	1 0 0                           ; fp8_utils_aot.py:0
	v_ashrrev_i32_e32 v10, 31, v26
	v_sub_u32_e32 v26, 0, v40
	.loc	1 61 26                         ; fp8_utils_aot.py:61:26
	v_cndmask_b32_e32 v14, v25, v24, vcc
	v_mul_lo_u32 v24, v33, s2
	.loc	1 0 0                           ; fp8_utils_aot.py:0
	v_max_i32_e32 v31, v26, v40
	.loc	1 61 26                         ; fp8_utils_aot.py:61:26
	v_sub_u32_e32 v26, v49, v24
	v_add_u32_e32 v24, 1, v33
	v_cmp_le_u32_e32 vcc, s2, v26
	v_cndmask_b32_e32 v27, v33, v24, vcc
	.loc	1 0 0                           ; fp8_utils_aot.py:0
	v_mad_u64_u32 v[24:25], s[0:1], v31, v46, 0
	.loc	1 61 26                         ; fp8_utils_aot.py:61:26
	v_xor_b32_e32 v24, s3, v28
	v_xor_b32_e32 v14, v14, v24
	v_sub_u32_e32 v24, v14, v24
	v_subrev_u32_e32 v14, s2, v26
	v_cndmask_b32_e32 v14, v26, v14, vcc
	v_add_u32_e32 v26, 1, v27
	v_cmp_le_u32_e32 vcc, s2, v14
	v_mul_lo_u32 v14, v15, s2
	.loc	1 0 0                           ; fp8_utils_aot.py:0
	v_sub_u32_e32 v28, 0, v41
	.loc	1 61 26                         ; fp8_utils_aot.py:61:26
	v_cndmask_b32_e32 v26, v27, v26, vcc
	v_sub_u32_e32 v27, v50, v14
	.loc	1 0 0                           ; fp8_utils_aot.py:0
	v_max_i32_e32 v28, v28, v41
	.loc	1 61 26                         ; fp8_utils_aot.py:61:26
	v_add_u32_e32 v14, 1, v15
	v_cmp_le_u32_e32 vcc, s2, v27
	.loc	1 0 0                           ; fp8_utils_aot.py:0
	v_ashrrev_i32_e32 v33, 31, v41
	.loc	1 61 26                         ; fp8_utils_aot.py:61:26
	v_cndmask_b32_e32 v41, v15, v14, vcc
	.loc	1 0 0                           ; fp8_utils_aot.py:0
	v_mad_u64_u32 v[14:15], s[0:1], v28, v46, 0
	.loc	1 61 26                         ; fp8_utils_aot.py:61:26
	v_xor_b32_e32 v14, s3, v30
	v_xor_b32_e32 v26, v26, v14
	v_sub_u32_e32 v14, v26, v14
	v_subrev_u32_e32 v26, s2, v27
	v_cndmask_b32_e32 v26, v27, v26, vcc
	.loc	1 0 0                           ; fp8_utils_aot.py:0
	v_sub_u32_e32 v30, 0, v42
	.loc	1 61 26                         ; fp8_utils_aot.py:61:26
	v_add_u32_e32 v27, 1, v41
	.loc	1 0 0                           ; fp8_utils_aot.py:0
	v_max_i32_e32 v30, v30, v42
	.loc	1 61 26                         ; fp8_utils_aot.py:61:26
	v_cmp_le_u32_e32 vcc, s2, v26
	v_cndmask_b32_e32 v41, v41, v27, vcc
	.loc	1 0 0                           ; fp8_utils_aot.py:0
	v_mad_u64_u32 v[26:27], s[0:1], v30, v46, 0
	.loc	1 61 26                         ; fp8_utils_aot.py:61:26
	v_xor_b32_e32 v26, s3, v32
	v_xor_b32_e32 v32, v41, v26
	v_mul_lo_u32 v41, v13, s2
	v_sub_u32_e32 v41, v52, v41
	v_add_u32_e32 v43, 1, v13
	v_cmp_le_u32_e32 vcc, s2, v41
	v_cndmask_b32_e32 v13, v13, v43, vcc
	v_subrev_u32_e32 v43, s2, v41
	v_cndmask_b32_e32 v41, v41, v43, vcc
	v_add_u32_e32 v43, 1, v13
	v_cmp_le_u32_e32 vcc, s2, v41
	v_sub_u32_e32 v26, v32, v26
	v_xor_b32_e32 v32, s3, v51
	v_cndmask_b32_e32 v13, v13, v43, vcc
	v_xor_b32_e32 v13, v13, v32
	v_sub_u32_e32 v13, v13, v32
	v_mul_lo_u32 v32, v11, s2
	v_sub_u32_e32 v32, v53, v32
	v_add_u32_e32 v41, 1, v11
	v_cmp_le_u32_e32 vcc, s2, v32
	v_cndmask_b32_e32 v11, v11, v41, vcc
	v_subrev_u32_e32 v41, s2, v32
	v_cndmask_b32_e32 v32, v32, v41, vcc
	v_add_u32_e32 v41, 1, v11
	v_cmp_le_u32_e32 vcc, s2, v32
	v_xor_b32_e32 v12, s3, v12
	v_cndmask_b32_e32 v11, v11, v41, vcc
	v_xor_b32_e32 v11, v11, v12
	v_sub_u32_e32 v11, v11, v12
	v_mul_lo_u32 v12, v9, s2
	v_sub_u32_e32 v12, v54, v12
	v_add_u32_e32 v32, 1, v9
	v_cmp_le_u32_e32 vcc, s2, v12
	v_cndmask_b32_e32 v9, v9, v32, vcc
	v_subrev_u32_e32 v32, s2, v12
	v_cndmask_b32_e32 v12, v12, v32, vcc
	v_add_u32_e32 v32, 1, v9
	v_cmp_le_u32_e32 vcc, s2, v12
	;; [unrolled: 13-line block ×4, first 2 shown]
	v_xor_b32_e32 v6, s3, v6
	v_cndmask_b32_e32 v5, v5, v10, vcc
	v_xor_b32_e32 v5, v5, v6
	v_sub_u32_e32 v5, v5, v6
	v_mul_lo_u32 v6, v3, s2
	v_sub_u32_e32 v6, v37, v6
	v_add_u32_e32 v8, 1, v3
	v_cmp_le_u32_e32 vcc, s2, v6
	v_cndmask_b32_e32 v3, v3, v8, vcc
	v_subrev_u32_e32 v8, s2, v6
	v_cndmask_b32_e32 v6, v6, v8, vcc
	v_cmp_le_u32_e32 vcc, s2, v6
	v_mul_lo_u32 v6, v21, s2
	v_add_u32_e32 v8, 1, v3
	v_sub_u32_e32 v6, v34, v6
	v_cndmask_b32_e32 v3, v3, v8, vcc
	v_add_u32_e32 v8, 1, v21
	v_cmp_le_u32_e32 vcc, s2, v6
	v_subrev_u32_e32 v10, s2, v6
	v_xor_b32_e32 v4, s3, v4
	v_cndmask_b32_e32 v8, v21, v8, vcc
	v_cndmask_b32_e32 v6, v6, v10, vcc
	.loc	1 0 0                           ; fp8_utils_aot.py:0
	v_ashrrev_i32_e32 v38, 31, v38
	.loc	1 61 26                         ; fp8_utils_aot.py:61:26
	v_xor_b32_e32 v3, v3, v4
	v_add_u32_e32 v10, 1, v8
	v_cmp_le_u32_e32 vcc, s2, v6
	v_sub_u32_e32 v3, v3, v4
	v_xor_b32_e32 v4, s3, v38
	v_cndmask_b32_e32 v6, v8, v10, vcc
	v_xor_b32_e32 v6, v6, v4
	v_sub_u32_e32 v32, v6, v4
	v_mul_lo_u32 v6, v23, s2
	v_sub_u32_e32 v6, v29, v6
	v_add_u32_e32 v8, 1, v23
	v_cmp_le_u32_e32 vcc, s2, v6
	v_subrev_u32_e32 v10, s2, v6
	v_cndmask_b32_e32 v8, v23, v8, vcc
	v_cndmask_b32_e32 v6, v6, v10, vcc
	.loc	1 0 0                           ; fp8_utils_aot.py:0
	v_ashrrev_i32_e32 v39, 31, v39
	.loc	1 61 26                         ; fp8_utils_aot.py:61:26
	v_add_u32_e32 v10, 1, v8
	v_cmp_le_u32_e32 vcc, s2, v6
	v_xor_b32_e32 v4, s3, v39
	v_cndmask_b32_e32 v6, v8, v10, vcc
	v_xor_b32_e32 v6, v6, v4
	v_sub_u32_e32 v34, v6, v4
	v_mul_lo_u32 v6, v25, s2
	v_sub_u32_e32 v6, v31, v6
	v_add_u32_e32 v8, 1, v25
	v_cmp_le_u32_e32 vcc, s2, v6
	v_subrev_u32_e32 v10, s2, v6
	v_cndmask_b32_e32 v8, v25, v8, vcc
	v_cndmask_b32_e32 v6, v6, v10, vcc
	.loc	1 0 0                           ; fp8_utils_aot.py:0
	v_ashrrev_i32_e32 v40, 31, v40
	.loc	1 61 26                         ; fp8_utils_aot.py:61:26
	v_add_u32_e32 v10, 1, v8
	v_cmp_le_u32_e32 vcc, s2, v6
	v_xor_b32_e32 v4, s3, v40
	v_cndmask_b32_e32 v6, v8, v10, vcc
	v_xor_b32_e32 v6, v6, v4
	v_sub_u32_e32 v31, v6, v4
	v_mul_lo_u32 v6, v15, s2
	v_sub_u32_e32 v6, v28, v6
	v_add_u32_e32 v8, 1, v15
	v_cmp_le_u32_e32 vcc, s2, v6
	v_subrev_u32_e32 v10, s2, v6
	v_cndmask_b32_e32 v8, v15, v8, vcc
	v_cndmask_b32_e32 v6, v6, v10, vcc
	v_add_u32_e32 v10, 1, v8
	v_cmp_le_u32_e32 vcc, s2, v6
	v_xor_b32_e32 v4, s3, v33
	v_cndmask_b32_e32 v6, v8, v10, vcc
	v_xor_b32_e32 v6, v6, v4
	v_sub_u32_e32 v33, v6, v4
	v_mul_lo_u32 v6, v27, s2
	v_sub_u32_e32 v6, v30, v6
	v_add_u32_e32 v8, 1, v27
	v_cmp_le_u32_e32 vcc, s2, v6
	v_subrev_u32_e32 v10, s2, v6
	v_cndmask_b32_e32 v8, v27, v8, vcc
	v_cndmask_b32_e32 v6, v6, v10, vcc
	.loc	1 0 0                           ; fp8_utils_aot.py:0
	v_ashrrev_i32_e32 v42, 31, v42
	.loc	1 61 26                         ; fp8_utils_aot.py:61:26
	v_add_u32_e32 v10, 1, v8
	v_cmp_le_u32_e32 vcc, s2, v6
	v_xor_b32_e32 v4, s3, v42
	v_cndmask_b32_e32 v6, v8, v10, vcc
	v_xor_b32_e32 v6, v6, v4
	v_sub_u32_e32 v30, v6, v4
	.loc	1 62 30 is_stmt 1               ; fp8_utils_aot.py:62:30
	v_mul_lo_u32 v4, v20, s67
	v_mul_lo_u32 v12, v26, s67
	;; [unrolled: 1-line block ×3, first 2 shown]
	.loc	1 62 19 is_stmt 0               ; fp8_utils_aot.py:62:19
	v_ashrrev_i32_e32 v5, 31, v4
	.loc	1 62 30                         ; fp8_utils_aot.py:62:30
	v_mul_lo_u32 v6, v22, s67
	.loc	1 62 19                         ; fp8_utils_aot.py:62:19
	v_lshlrev_b64 v[4:5], 2, v[4:5]
	.loc	1 62 30                         ; fp8_utils_aot.py:62:30
	v_mul_lo_u32 v8, v24, s67
	v_mul_lo_u32 v24, v7, s67
	;; [unrolled: 1-line block ×3, first 2 shown]
	.loc	1 62 19                         ; fp8_utils_aot.py:62:19
	v_mov_b32_e32 v3, s15
	v_add_co_u32_e32 v4, vcc, s14, v4
	v_ashrrev_i32_e32 v7, 31, v6
	v_accvgpr_write_b32 a22, v4
	v_addc_co_u32_e32 v3, vcc, v3, v5, vcc
	v_lshlrev_b64 v[4:5], 2, v[6:7]
	.loc	1 62 30                         ; fp8_utils_aot.py:62:30
	v_mul_lo_u32 v22, v9, s67
	v_accvgpr_write_b32 a21, v3
	.loc	1 62 19                         ; fp8_utils_aot.py:62:19
	v_mov_b32_e32 v3, s15
	v_add_co_u32_e32 v4, vcc, s14, v4
	v_ashrrev_i32_e32 v9, 31, v8
	.loc	1 62 30                         ; fp8_utils_aot.py:62:30
	v_mul_lo_u32 v10, v14, s67
	v_accvgpr_write_b32 a24, v4
	.loc	1 62 19                         ; fp8_utils_aot.py:62:19
	v_addc_co_u32_e32 v3, vcc, v3, v5, vcc
	v_lshlrev_b64 v[4:5], 2, v[8:9]
	.loc	1 62 30                         ; fp8_utils_aot.py:62:30
	v_mul_lo_u32 v20, v11, s67
	v_accvgpr_write_b32 a23, v3
	.loc	1 62 19                         ; fp8_utils_aot.py:62:19
	v_mov_b32_e32 v3, s15
	v_add_co_u32_e32 v4, vcc, s14, v4
	v_ashrrev_i32_e32 v11, 31, v10
	v_accvgpr_write_b32 a26, v4
	v_addc_co_u32_e32 v3, vcc, v3, v5, vcc
	v_lshlrev_b64 v[4:5], 2, v[10:11]
	.loc	1 62 30                         ; fp8_utils_aot.py:62:30
	v_mul_lo_u32 v14, v13, s67
	v_accvgpr_write_b32 a25, v3
	.loc	1 62 19                         ; fp8_utils_aot.py:62:19
	v_mov_b32_e32 v3, s15
	v_add_co_u32_e32 v4, vcc, s14, v4
	v_ashrrev_i32_e32 v13, 31, v12
	v_accvgpr_write_b32 a28, v4
	v_addc_co_u32_e32 v3, vcc, v3, v5, vcc
	v_lshlrev_b64 v[4:5], 2, v[12:13]
	v_accvgpr_write_b32 a27, v3
	v_mov_b32_e32 v3, s15
	v_add_co_u32_e32 v4, vcc, s14, v4
	v_ashrrev_i32_e32 v15, 31, v14
	v_accvgpr_write_b32 a30, v4
	v_addc_co_u32_e32 v3, vcc, v3, v5, vcc
	v_lshlrev_b64 v[4:5], 2, v[14:15]
	v_accvgpr_write_b32 a29, v3
	;; [unrolled: 7-line block ×6, first 2 shown]
	v_mov_b32_e32 v3, s15
	v_add_co_u32_e32 v4, vcc, s14, v4
	v_ashrrev_i32_e32 v29, 31, v28
	v_accvgpr_write_b32 a40, v4
	v_addc_co_u32_e32 v3, vcc, v3, v5, vcc
	v_lshlrev_b64 v[4:5], 2, v[28:29]
	v_add_co_u32_e32 v4, vcc, s14, v4
	v_accvgpr_write_b32 a39, v3
	v_mov_b32_e32 v3, s15
	v_accvgpr_write_b32 a42, v4
	.loc	1 62 30                         ; fp8_utils_aot.py:62:30
	v_mul_lo_u32 v4, v32, s67
	.loc	1 62 19                         ; fp8_utils_aot.py:62:19
	v_addc_co_u32_e32 v3, vcc, v3, v5, vcc
	v_ashrrev_i32_e32 v5, 31, v4
	v_lshlrev_b64 v[4:5], 2, v[4:5]
	v_add_co_u32_e32 v4, vcc, s14, v4
	v_accvgpr_write_b32 a41, v3
	v_mov_b32_e32 v3, s15
	v_accvgpr_write_b32 a44, v4
	.loc	1 62 30                         ; fp8_utils_aot.py:62:30
	v_mul_lo_u32 v4, v34, s67
	.loc	1 62 19                         ; fp8_utils_aot.py:62:19
	v_addc_co_u32_e32 v3, vcc, v3, v5, vcc
	v_ashrrev_i32_e32 v5, 31, v4
	;; [unrolled: 10-line block ×4, first 2 shown]
	v_lshlrev_b64 v[4:5], 2, v[4:5]
	v_writelane_b32 v253, s5, 3
	v_add_co_u32_e32 v4, vcc, s14, v4
	v_accvgpr_write_b32 a47, v3
	v_mov_b32_e32 v3, s15
	v_accvgpr_write_b32 a50, v4
	.loc	1 62 30                         ; fp8_utils_aot.py:62:30
	v_writelane_b32 v253, s64, 4
	v_mul_lo_u32 v4, v30, s67
	.loc	1 62 19                         ; fp8_utils_aot.py:62:19
	v_addc_co_u32_e32 v3, vcc, v3, v5, vcc
	v_ashrrev_i32_e32 v5, 31, v4
	v_lshlrev_b64 v[4:5], 2, v[4:5]
	v_accvgpr_write_b32 a49, v3
	v_mov_b32_e32 v3, s15
	v_add_co_u32_e32 v4, vcc, s14, v4
	.loc	1 54 51 is_stmt 1               ; fp8_utils_aot.py:54:51
	v_lshrrev_b32_e32 v161, 7, v0
	.loc	1 62 19                         ; fp8_utils_aot.py:62:19
	v_addc_co_u32_e32 v3, vcc, v3, v5, vcc
	.loc	1 54 51                         ; fp8_utils_aot.py:54:51
	v_or_b32_e32 v39, 62, v161
	v_accvgpr_write_b32 a51, v3
	.loc	1 54 68 is_stmt 0               ; fp8_utils_aot.py:54:68
	s_ashr_i32 s0, s57, 31
	.loc	1 54 38                         ; fp8_utils_aot.py:54:38
	v_or_b32_e32 v3, s57, v39
	.loc	1 54 68                         ; fp8_utils_aot.py:54:68
	v_add_u32_e32 v3, s0, v3
	v_xor_b32_e32 v3, s0, v3
	v_accvgpr_write_b32 a52, v4
	v_mul_hi_u32 v4, v3, v19
	v_mul_lo_u32 v4, v4, s45
	v_sub_u32_e32 v3, v3, v4
	v_subrev_u32_e32 v4, s45, v3
	v_cmp_le_u32_e32 vcc, s45, v3
	v_cndmask_b32_e32 v3, v3, v4, vcc
	v_subrev_u32_e32 v4, s45, v3
	v_cmp_le_u32_e32 vcc, s45, v3
	.loc	1 54 51                         ; fp8_utils_aot.py:54:51
	v_or_b32_e32 v40, 60, v161
	.loc	1 54 68                         ; fp8_utils_aot.py:54:68
	v_cndmask_b32_e32 v3, v3, v4, vcc
	.loc	1 54 38                         ; fp8_utils_aot.py:54:38
	v_or_b32_e32 v4, s57, v40
	.loc	1 54 68                         ; fp8_utils_aot.py:54:68
	v_add_u32_e32 v4, s0, v4
	v_xor_b32_e32 v4, s0, v4
	v_mul_hi_u32 v5, v4, v19
	v_mul_lo_u32 v5, v5, s45
	v_sub_u32_e32 v4, v4, v5
	v_subrev_u32_e32 v5, s45, v4
	v_cmp_le_u32_e32 vcc, s45, v4
	v_cndmask_b32_e32 v4, v4, v5, vcc
	v_subrev_u32_e32 v5, s45, v4
	v_cmp_le_u32_e32 vcc, s45, v4
	.loc	1 54 51                         ; fp8_utils_aot.py:54:51
	v_or_b32_e32 v41, 58, v161
	.loc	1 54 68                         ; fp8_utils_aot.py:54:68
	v_cndmask_b32_e32 v4, v4, v5, vcc
	.loc	1 54 38                         ; fp8_utils_aot.py:54:38
	v_or_b32_e32 v5, s57, v41
	.loc	1 54 68                         ; fp8_utils_aot.py:54:68
	v_add_u32_e32 v5, s0, v5
	v_xor_b32_e32 v5, s0, v5
	v_mul_hi_u32 v6, v5, v19
	v_mul_lo_u32 v6, v6, s45
	v_sub_u32_e32 v5, v5, v6
	v_subrev_u32_e32 v6, s45, v5
	v_cmp_le_u32_e32 vcc, s45, v5
	v_cndmask_b32_e32 v5, v5, v6, vcc
	v_subrev_u32_e32 v6, s45, v5
	v_cmp_le_u32_e32 vcc, s45, v5
	.loc	1 54 51                         ; fp8_utils_aot.py:54:51
	v_or_b32_e32 v42, 56, v161
	.loc	1 54 68                         ; fp8_utils_aot.py:54:68
	v_cndmask_b32_e32 v5, v5, v6, vcc
	.loc	1 54 38                         ; fp8_utils_aot.py:54:38
	v_or_b32_e32 v6, s57, v42
	.loc	1 54 68                         ; fp8_utils_aot.py:54:68
	v_add_u32_e32 v6, s0, v6
	v_xor_b32_e32 v6, s0, v6
	v_mul_hi_u32 v7, v6, v19
	v_mul_lo_u32 v7, v7, s45
	v_sub_u32_e32 v6, v6, v7
	v_subrev_u32_e32 v7, s45, v6
	v_cmp_le_u32_e32 vcc, s45, v6
	v_cndmask_b32_e32 v6, v6, v7, vcc
	v_subrev_u32_e32 v7, s45, v6
	v_cmp_le_u32_e32 vcc, s45, v6
	.loc	1 54 51                         ; fp8_utils_aot.py:54:51
	v_or_b32_e32 v43, 54, v161
	.loc	1 54 68                         ; fp8_utils_aot.py:54:68
	v_cndmask_b32_e32 v6, v6, v7, vcc
	.loc	1 54 38                         ; fp8_utils_aot.py:54:38
	v_or_b32_e32 v7, s57, v43
	.loc	1 54 68                         ; fp8_utils_aot.py:54:68
	v_add_u32_e32 v7, s0, v7
	v_xor_b32_e32 v7, s0, v7
	v_mul_hi_u32 v8, v7, v19
	v_mul_lo_u32 v8, v8, s45
	v_sub_u32_e32 v7, v7, v8
	v_subrev_u32_e32 v8, s45, v7
	v_cmp_le_u32_e32 vcc, s45, v7
	v_cndmask_b32_e32 v7, v7, v8, vcc
	v_subrev_u32_e32 v8, s45, v7
	v_cmp_le_u32_e32 vcc, s45, v7
	.loc	1 54 51                         ; fp8_utils_aot.py:54:51
	v_or_b32_e32 v44, 52, v161
	.loc	1 54 68                         ; fp8_utils_aot.py:54:68
	v_cndmask_b32_e32 v7, v7, v8, vcc
	.loc	1 54 38                         ; fp8_utils_aot.py:54:38
	v_or_b32_e32 v8, s57, v44
	.loc	1 54 68                         ; fp8_utils_aot.py:54:68
	v_add_u32_e32 v8, s0, v8
	v_xor_b32_e32 v8, s0, v8
	v_mul_hi_u32 v9, v8, v19
	v_mul_lo_u32 v9, v9, s45
	v_sub_u32_e32 v8, v8, v9
	v_subrev_u32_e32 v9, s45, v8
	v_cmp_le_u32_e32 vcc, s45, v8
	v_cndmask_b32_e32 v8, v8, v9, vcc
	v_subrev_u32_e32 v9, s45, v8
	v_cmp_le_u32_e32 vcc, s45, v8
	.loc	1 54 51                         ; fp8_utils_aot.py:54:51
	v_or_b32_e32 v45, 50, v161
	.loc	1 54 68                         ; fp8_utils_aot.py:54:68
	v_cndmask_b32_e32 v8, v8, v9, vcc
	.loc	1 54 38                         ; fp8_utils_aot.py:54:38
	v_or_b32_e32 v9, s57, v45
	.loc	1 54 68                         ; fp8_utils_aot.py:54:68
	v_add_u32_e32 v9, s0, v9
	v_xor_b32_e32 v9, s0, v9
	v_mul_hi_u32 v10, v9, v19
	v_mul_lo_u32 v10, v10, s45
	v_sub_u32_e32 v9, v9, v10
	v_subrev_u32_e32 v10, s45, v9
	v_cmp_le_u32_e32 vcc, s45, v9
	v_cndmask_b32_e32 v9, v9, v10, vcc
	v_subrev_u32_e32 v10, s45, v9
	v_cmp_le_u32_e32 vcc, s45, v9
	.loc	1 54 51                         ; fp8_utils_aot.py:54:51
	v_or_b32_e32 v46, 48, v161
	.loc	1 54 68                         ; fp8_utils_aot.py:54:68
	v_cndmask_b32_e32 v9, v9, v10, vcc
	.loc	1 54 38                         ; fp8_utils_aot.py:54:38
	v_or_b32_e32 v10, s57, v46
	.loc	1 54 68                         ; fp8_utils_aot.py:54:68
	v_add_u32_e32 v10, s0, v10
	v_xor_b32_e32 v10, s0, v10
	v_mul_hi_u32 v11, v10, v19
	v_mul_lo_u32 v11, v11, s45
	v_sub_u32_e32 v10, v10, v11
	v_subrev_u32_e32 v11, s45, v10
	v_cmp_le_u32_e32 vcc, s45, v10
	v_cndmask_b32_e32 v10, v10, v11, vcc
	v_subrev_u32_e32 v11, s45, v10
	v_cmp_le_u32_e32 vcc, s45, v10
	.loc	1 54 51                         ; fp8_utils_aot.py:54:51
	v_or_b32_e32 v47, 46, v161
	.loc	1 54 68                         ; fp8_utils_aot.py:54:68
	v_cndmask_b32_e32 v10, v10, v11, vcc
	.loc	1 54 38                         ; fp8_utils_aot.py:54:38
	v_or_b32_e32 v11, s57, v47
	.loc	1 54 68                         ; fp8_utils_aot.py:54:68
	v_add_u32_e32 v11, s0, v11
	v_xor_b32_e32 v11, s0, v11
	v_mul_hi_u32 v12, v11, v19
	v_mul_lo_u32 v12, v12, s45
	v_sub_u32_e32 v11, v11, v12
	v_subrev_u32_e32 v12, s45, v11
	v_cmp_le_u32_e32 vcc, s45, v11
	v_cndmask_b32_e32 v11, v11, v12, vcc
	v_subrev_u32_e32 v12, s45, v11
	v_cmp_le_u32_e32 vcc, s45, v11
	.loc	1 54 51                         ; fp8_utils_aot.py:54:51
	v_or_b32_e32 v48, 44, v161
	.loc	1 54 68                         ; fp8_utils_aot.py:54:68
	v_cndmask_b32_e32 v11, v11, v12, vcc
	.loc	1 54 38                         ; fp8_utils_aot.py:54:38
	v_or_b32_e32 v12, s57, v48
	.loc	1 54 68                         ; fp8_utils_aot.py:54:68
	v_add_u32_e32 v12, s0, v12
	v_xor_b32_e32 v12, s0, v12
	v_mul_hi_u32 v13, v12, v19
	v_mul_lo_u32 v13, v13, s45
	v_sub_u32_e32 v12, v12, v13
	v_subrev_u32_e32 v13, s45, v12
	v_cmp_le_u32_e32 vcc, s45, v12
	v_cndmask_b32_e32 v12, v12, v13, vcc
	v_subrev_u32_e32 v13, s45, v12
	v_cmp_le_u32_e32 vcc, s45, v12
	.loc	1 54 51                         ; fp8_utils_aot.py:54:51
	v_or_b32_e32 v49, 42, v161
	.loc	1 54 68                         ; fp8_utils_aot.py:54:68
	v_cndmask_b32_e32 v12, v12, v13, vcc
	.loc	1 54 38                         ; fp8_utils_aot.py:54:38
	v_or_b32_e32 v13, s57, v49
	.loc	1 54 68                         ; fp8_utils_aot.py:54:68
	v_add_u32_e32 v13, s0, v13
	v_xor_b32_e32 v13, s0, v13
	v_mul_hi_u32 v14, v13, v19
	v_mul_lo_u32 v14, v14, s45
	v_sub_u32_e32 v13, v13, v14
	v_subrev_u32_e32 v14, s45, v13
	v_cmp_le_u32_e32 vcc, s45, v13
	v_cndmask_b32_e32 v13, v13, v14, vcc
	v_subrev_u32_e32 v14, s45, v13
	v_cmp_le_u32_e32 vcc, s45, v13
	.loc	1 54 51                         ; fp8_utils_aot.py:54:51
	v_or_b32_e32 v50, 40, v161
	.loc	1 54 68                         ; fp8_utils_aot.py:54:68
	v_cndmask_b32_e32 v13, v13, v14, vcc
	.loc	1 54 38                         ; fp8_utils_aot.py:54:38
	v_or_b32_e32 v14, s57, v50
	.loc	1 54 68                         ; fp8_utils_aot.py:54:68
	v_add_u32_e32 v14, s0, v14
	v_xor_b32_e32 v14, s0, v14
	v_mul_hi_u32 v15, v14, v19
	v_mul_lo_u32 v15, v15, s45
	v_sub_u32_e32 v14, v14, v15
	v_subrev_u32_e32 v15, s45, v14
	v_cmp_le_u32_e32 vcc, s45, v14
	v_cndmask_b32_e32 v14, v14, v15, vcc
	v_subrev_u32_e32 v15, s45, v14
	v_cmp_le_u32_e32 vcc, s45, v14
	.loc	1 54 51                         ; fp8_utils_aot.py:54:51
	v_or_b32_e32 v51, 38, v161
	.loc	1 54 68                         ; fp8_utils_aot.py:54:68
	v_cndmask_b32_e32 v14, v14, v15, vcc
	.loc	1 54 38                         ; fp8_utils_aot.py:54:38
	v_or_b32_e32 v15, s57, v51
	.loc	1 54 68                         ; fp8_utils_aot.py:54:68
	v_add_u32_e32 v15, s0, v15
	v_xor_b32_e32 v15, s0, v15
	v_mul_hi_u32 v20, v15, v19
	v_mul_lo_u32 v20, v20, s45
	v_sub_u32_e32 v15, v15, v20
	v_subrev_u32_e32 v20, s45, v15
	v_cmp_le_u32_e32 vcc, s45, v15
	v_cndmask_b32_e32 v15, v15, v20, vcc
	v_subrev_u32_e32 v20, s45, v15
	v_cmp_le_u32_e32 vcc, s45, v15
	.loc	1 54 51                         ; fp8_utils_aot.py:54:51
	v_or_b32_e32 v52, 36, v161
	.loc	1 54 68                         ; fp8_utils_aot.py:54:68
	v_cndmask_b32_e32 v15, v15, v20, vcc
	.loc	1 54 38                         ; fp8_utils_aot.py:54:38
	v_or_b32_e32 v20, s57, v52
	.loc	1 54 68                         ; fp8_utils_aot.py:54:68
	v_add_u32_e32 v20, s0, v20
	v_xor_b32_e32 v20, s0, v20
	v_mul_hi_u32 v21, v20, v19
	v_mul_lo_u32 v21, v21, s45
	v_sub_u32_e32 v20, v20, v21
	v_subrev_u32_e32 v21, s45, v20
	v_cmp_le_u32_e32 vcc, s45, v20
	v_cndmask_b32_e32 v20, v20, v21, vcc
	v_subrev_u32_e32 v21, s45, v20
	v_cmp_le_u32_e32 vcc, s45, v20
	.loc	1 54 51                         ; fp8_utils_aot.py:54:51
	v_or_b32_e32 v53, 34, v161
	.loc	1 54 68                         ; fp8_utils_aot.py:54:68
	v_cndmask_b32_e32 v20, v20, v21, vcc
	.loc	1 54 38                         ; fp8_utils_aot.py:54:38
	v_or_b32_e32 v21, s57, v53
	.loc	1 54 68                         ; fp8_utils_aot.py:54:68
	v_add_u32_e32 v21, s0, v21
	v_xor_b32_e32 v21, s0, v21
	v_mul_hi_u32 v22, v21, v19
	v_mul_lo_u32 v22, v22, s45
	v_sub_u32_e32 v21, v21, v22
	v_subrev_u32_e32 v22, s45, v21
	v_cmp_le_u32_e32 vcc, s45, v21
	v_cndmask_b32_e32 v21, v21, v22, vcc
	v_subrev_u32_e32 v22, s45, v21
	v_cmp_le_u32_e32 vcc, s45, v21
	.loc	1 54 51                         ; fp8_utils_aot.py:54:51
	v_or_b32_e32 v54, 32, v161
	.loc	1 54 68                         ; fp8_utils_aot.py:54:68
	v_cndmask_b32_e32 v21, v21, v22, vcc
	.loc	1 54 38                         ; fp8_utils_aot.py:54:38
	v_or_b32_e32 v22, s57, v54
	.loc	1 54 68                         ; fp8_utils_aot.py:54:68
	v_add_u32_e32 v22, s0, v22
	v_xor_b32_e32 v22, s0, v22
	v_mul_hi_u32 v23, v22, v19
	v_mul_lo_u32 v23, v23, s45
	v_sub_u32_e32 v22, v22, v23
	v_subrev_u32_e32 v23, s45, v22
	v_cmp_le_u32_e32 vcc, s45, v22
	v_cndmask_b32_e32 v22, v22, v23, vcc
	v_subrev_u32_e32 v23, s45, v22
	v_cmp_le_u32_e32 vcc, s45, v22
	.loc	1 54 51                         ; fp8_utils_aot.py:54:51
	v_or_b32_e32 v55, 30, v161
	.loc	1 54 68                         ; fp8_utils_aot.py:54:68
	v_cndmask_b32_e32 v22, v22, v23, vcc
	.loc	1 54 38                         ; fp8_utils_aot.py:54:38
	v_or_b32_e32 v23, s57, v55
	.loc	1 54 68                         ; fp8_utils_aot.py:54:68
	v_add_u32_e32 v23, s0, v23
	v_xor_b32_e32 v23, s0, v23
	v_mul_hi_u32 v24, v23, v19
	v_mul_lo_u32 v24, v24, s45
	v_sub_u32_e32 v23, v23, v24
	v_subrev_u32_e32 v24, s45, v23
	v_cmp_le_u32_e32 vcc, s45, v23
	v_cndmask_b32_e32 v23, v23, v24, vcc
	v_subrev_u32_e32 v24, s45, v23
	v_cmp_le_u32_e32 vcc, s45, v23
	.loc	1 54 51                         ; fp8_utils_aot.py:54:51
	v_or_b32_e32 v56, 28, v161
	.loc	1 54 68                         ; fp8_utils_aot.py:54:68
	v_cndmask_b32_e32 v23, v23, v24, vcc
	.loc	1 54 38                         ; fp8_utils_aot.py:54:38
	v_or_b32_e32 v24, s57, v56
	.loc	1 54 68                         ; fp8_utils_aot.py:54:68
	v_add_u32_e32 v24, s0, v24
	v_xor_b32_e32 v24, s0, v24
	v_mul_hi_u32 v25, v24, v19
	v_mul_lo_u32 v25, v25, s45
	v_sub_u32_e32 v24, v24, v25
	v_subrev_u32_e32 v25, s45, v24
	v_cmp_le_u32_e32 vcc, s45, v24
	v_cndmask_b32_e32 v24, v24, v25, vcc
	v_subrev_u32_e32 v25, s45, v24
	v_cmp_le_u32_e32 vcc, s45, v24
	.loc	1 54 51                         ; fp8_utils_aot.py:54:51
	v_or_b32_e32 v57, 26, v161
	.loc	1 54 68                         ; fp8_utils_aot.py:54:68
	v_cndmask_b32_e32 v24, v24, v25, vcc
	.loc	1 54 38                         ; fp8_utils_aot.py:54:38
	v_or_b32_e32 v25, s57, v57
	.loc	1 54 68                         ; fp8_utils_aot.py:54:68
	v_add_u32_e32 v25, s0, v25
	v_xor_b32_e32 v25, s0, v25
	v_mul_hi_u32 v26, v25, v19
	v_mul_lo_u32 v26, v26, s45
	v_sub_u32_e32 v25, v25, v26
	v_subrev_u32_e32 v26, s45, v25
	v_cmp_le_u32_e32 vcc, s45, v25
	v_cndmask_b32_e32 v25, v25, v26, vcc
	v_subrev_u32_e32 v26, s45, v25
	v_cmp_le_u32_e32 vcc, s45, v25
	.loc	1 54 51                         ; fp8_utils_aot.py:54:51
	v_or_b32_e32 v58, 24, v161
	.loc	1 54 68                         ; fp8_utils_aot.py:54:68
	v_cndmask_b32_e32 v25, v25, v26, vcc
	.loc	1 54 38                         ; fp8_utils_aot.py:54:38
	v_or_b32_e32 v26, s57, v58
	.loc	1 54 68                         ; fp8_utils_aot.py:54:68
	v_add_u32_e32 v26, s0, v26
	v_xor_b32_e32 v26, s0, v26
	v_mul_hi_u32 v27, v26, v19
	v_mul_lo_u32 v27, v27, s45
	v_sub_u32_e32 v26, v26, v27
	v_subrev_u32_e32 v27, s45, v26
	v_cmp_le_u32_e32 vcc, s45, v26
	v_cndmask_b32_e32 v26, v26, v27, vcc
	v_subrev_u32_e32 v27, s45, v26
	v_cmp_le_u32_e32 vcc, s45, v26
	.loc	1 54 51                         ; fp8_utils_aot.py:54:51
	v_or_b32_e32 v59, 22, v161
	.loc	1 54 68                         ; fp8_utils_aot.py:54:68
	v_cndmask_b32_e32 v26, v26, v27, vcc
	.loc	1 54 38                         ; fp8_utils_aot.py:54:38
	v_or_b32_e32 v27, s57, v59
	.loc	1 54 68                         ; fp8_utils_aot.py:54:68
	v_add_u32_e32 v27, s0, v27
	v_xor_b32_e32 v27, s0, v27
	v_mul_hi_u32 v28, v27, v19
	v_mul_lo_u32 v28, v28, s45
	v_sub_u32_e32 v27, v27, v28
	v_subrev_u32_e32 v28, s45, v27
	v_cmp_le_u32_e32 vcc, s45, v27
	v_cndmask_b32_e32 v27, v27, v28, vcc
	v_subrev_u32_e32 v28, s45, v27
	v_cmp_le_u32_e32 vcc, s45, v27
	.loc	1 54 51                         ; fp8_utils_aot.py:54:51
	v_or_b32_e32 v60, 20, v161
	.loc	1 54 68                         ; fp8_utils_aot.py:54:68
	v_cndmask_b32_e32 v27, v27, v28, vcc
	.loc	1 54 38                         ; fp8_utils_aot.py:54:38
	v_or_b32_e32 v28, s57, v60
	.loc	1 54 68                         ; fp8_utils_aot.py:54:68
	v_add_u32_e32 v28, s0, v28
	v_xor_b32_e32 v28, s0, v28
	v_mul_hi_u32 v29, v28, v19
	v_mul_lo_u32 v29, v29, s45
	v_sub_u32_e32 v28, v28, v29
	v_subrev_u32_e32 v29, s45, v28
	v_cmp_le_u32_e32 vcc, s45, v28
	v_cndmask_b32_e32 v28, v28, v29, vcc
	v_subrev_u32_e32 v29, s45, v28
	v_cmp_le_u32_e32 vcc, s45, v28
	.loc	1 54 51                         ; fp8_utils_aot.py:54:51
	v_or_b32_e32 v61, 18, v161
	.loc	1 54 68                         ; fp8_utils_aot.py:54:68
	v_cndmask_b32_e32 v28, v28, v29, vcc
	.loc	1 54 38                         ; fp8_utils_aot.py:54:38
	v_or_b32_e32 v29, s57, v61
	.loc	1 54 68                         ; fp8_utils_aot.py:54:68
	v_add_u32_e32 v29, s0, v29
	v_xor_b32_e32 v29, s0, v29
	v_mul_hi_u32 v30, v29, v19
	v_mul_lo_u32 v30, v30, s45
	v_sub_u32_e32 v29, v29, v30
	v_subrev_u32_e32 v30, s45, v29
	v_cmp_le_u32_e32 vcc, s45, v29
	v_cndmask_b32_e32 v29, v29, v30, vcc
	v_subrev_u32_e32 v30, s45, v29
	v_cmp_le_u32_e32 vcc, s45, v29
	.loc	1 54 51                         ; fp8_utils_aot.py:54:51
	v_or_b32_e32 v62, 16, v161
	.loc	1 54 68                         ; fp8_utils_aot.py:54:68
	v_cndmask_b32_e32 v29, v29, v30, vcc
	.loc	1 54 38                         ; fp8_utils_aot.py:54:38
	v_or_b32_e32 v30, s57, v62
	.loc	1 54 68                         ; fp8_utils_aot.py:54:68
	v_add_u32_e32 v30, s0, v30
	v_xor_b32_e32 v30, s0, v30
	v_mul_hi_u32 v31, v30, v19
	v_mul_lo_u32 v31, v31, s45
	v_sub_u32_e32 v30, v30, v31
	v_subrev_u32_e32 v31, s45, v30
	v_cmp_le_u32_e32 vcc, s45, v30
	v_cndmask_b32_e32 v30, v30, v31, vcc
	v_subrev_u32_e32 v31, s45, v30
	v_cmp_le_u32_e32 vcc, s45, v30
	.loc	1 54 51                         ; fp8_utils_aot.py:54:51
	v_or_b32_e32 v63, 14, v161
	.loc	1 54 68                         ; fp8_utils_aot.py:54:68
	v_cndmask_b32_e32 v30, v30, v31, vcc
	.loc	1 54 38                         ; fp8_utils_aot.py:54:38
	v_or_b32_e32 v31, s57, v63
	.loc	1 54 68                         ; fp8_utils_aot.py:54:68
	v_add_u32_e32 v31, s0, v31
	v_xor_b32_e32 v31, s0, v31
	v_mul_hi_u32 v32, v31, v19
	v_mul_lo_u32 v32, v32, s45
	v_sub_u32_e32 v31, v31, v32
	v_subrev_u32_e32 v32, s45, v31
	v_cmp_le_u32_e32 vcc, s45, v31
	v_cndmask_b32_e32 v31, v31, v32, vcc
	v_subrev_u32_e32 v32, s45, v31
	v_cmp_le_u32_e32 vcc, s45, v31
	.loc	1 54 51                         ; fp8_utils_aot.py:54:51
	v_or_b32_e32 v64, 12, v161
	.loc	1 54 68                         ; fp8_utils_aot.py:54:68
	v_cndmask_b32_e32 v31, v31, v32, vcc
	.loc	1 54 38                         ; fp8_utils_aot.py:54:38
	v_or_b32_e32 v32, s57, v64
	.loc	1 54 68                         ; fp8_utils_aot.py:54:68
	v_add_u32_e32 v32, s0, v32
	v_xor_b32_e32 v32, s0, v32
	v_mul_hi_u32 v33, v32, v19
	v_mul_lo_u32 v33, v33, s45
	v_sub_u32_e32 v32, v32, v33
	v_subrev_u32_e32 v33, s45, v32
	v_cmp_le_u32_e32 vcc, s45, v32
	v_cndmask_b32_e32 v32, v32, v33, vcc
	v_subrev_u32_e32 v33, s45, v32
	v_cmp_le_u32_e32 vcc, s45, v32
	.loc	1 54 51                         ; fp8_utils_aot.py:54:51
	v_or_b32_e32 v65, 10, v161
	.loc	1 54 68                         ; fp8_utils_aot.py:54:68
	v_cndmask_b32_e32 v32, v32, v33, vcc
	.loc	1 54 38                         ; fp8_utils_aot.py:54:38
	v_or_b32_e32 v33, s57, v65
	.loc	1 54 68                         ; fp8_utils_aot.py:54:68
	v_add_u32_e32 v33, s0, v33
	v_xor_b32_e32 v33, s0, v33
	v_mul_hi_u32 v34, v33, v19
	v_mul_lo_u32 v34, v34, s45
	v_sub_u32_e32 v33, v33, v34
	v_subrev_u32_e32 v34, s45, v33
	v_cmp_le_u32_e32 vcc, s45, v33
	v_cndmask_b32_e32 v33, v33, v34, vcc
	v_subrev_u32_e32 v34, s45, v33
	v_cmp_le_u32_e32 vcc, s45, v33
	.loc	1 54 51                         ; fp8_utils_aot.py:54:51
	v_or_b32_e32 v66, 8, v161
	.loc	1 54 68                         ; fp8_utils_aot.py:54:68
	v_cndmask_b32_e32 v33, v33, v34, vcc
	.loc	1 54 38                         ; fp8_utils_aot.py:54:38
	v_or_b32_e32 v34, s57, v66
	.loc	1 54 68                         ; fp8_utils_aot.py:54:68
	v_add_u32_e32 v34, s0, v34
	v_xor_b32_e32 v34, s0, v34
	v_mul_hi_u32 v35, v34, v19
	v_mul_lo_u32 v35, v35, s45
	v_sub_u32_e32 v34, v34, v35
	v_subrev_u32_e32 v35, s45, v34
	v_cmp_le_u32_e32 vcc, s45, v34
	v_cndmask_b32_e32 v34, v34, v35, vcc
	v_subrev_u32_e32 v35, s45, v34
	v_cmp_le_u32_e32 vcc, s45, v34
	.loc	1 54 51                         ; fp8_utils_aot.py:54:51
	v_or_b32_e32 v67, 6, v161
	.loc	1 54 68                         ; fp8_utils_aot.py:54:68
	v_cndmask_b32_e32 v34, v34, v35, vcc
	.loc	1 54 38                         ; fp8_utils_aot.py:54:38
	v_or_b32_e32 v35, s57, v67
	.loc	1 54 68                         ; fp8_utils_aot.py:54:68
	v_add_u32_e32 v35, s0, v35
	v_xor_b32_e32 v35, s0, v35
	v_mul_hi_u32 v36, v35, v19
	v_mul_lo_u32 v36, v36, s45
	v_sub_u32_e32 v35, v35, v36
	v_subrev_u32_e32 v36, s45, v35
	v_cmp_le_u32_e32 vcc, s45, v35
	v_cndmask_b32_e32 v35, v35, v36, vcc
	v_subrev_u32_e32 v36, s45, v35
	v_cmp_le_u32_e32 vcc, s45, v35
	.loc	1 54 51                         ; fp8_utils_aot.py:54:51
	v_or_b32_e32 v68, 4, v161
	.loc	1 54 68                         ; fp8_utils_aot.py:54:68
	v_cndmask_b32_e32 v35, v35, v36, vcc
	.loc	1 54 38                         ; fp8_utils_aot.py:54:38
	v_or_b32_e32 v36, s57, v68
	.loc	1 54 68                         ; fp8_utils_aot.py:54:68
	v_add_u32_e32 v36, s0, v36
	v_xor_b32_e32 v36, s0, v36
	v_mul_hi_u32 v37, v36, v19
	v_mul_lo_u32 v37, v37, s45
	v_sub_u32_e32 v36, v36, v37
	v_subrev_u32_e32 v37, s45, v36
	v_cmp_le_u32_e32 vcc, s45, v36
	v_cndmask_b32_e32 v36, v36, v37, vcc
	v_subrev_u32_e32 v37, s45, v36
	v_cmp_le_u32_e32 vcc, s45, v36
	.loc	1 54 51                         ; fp8_utils_aot.py:54:51
	v_or_b32_e32 v69, 2, v161
	.loc	1 54 68                         ; fp8_utils_aot.py:54:68
	v_cndmask_b32_e32 v36, v36, v37, vcc
	.loc	1 54 38                         ; fp8_utils_aot.py:54:38
	v_or_b32_e32 v37, s57, v69
	.loc	1 54 68                         ; fp8_utils_aot.py:54:68
	v_add_u32_e32 v37, s0, v37
	v_xor_b32_e32 v37, s0, v37
	v_mul_hi_u32 v38, v37, v19
	v_mul_lo_u32 v38, v38, s45
	v_sub_u32_e32 v37, v37, v38
	v_subrev_u32_e32 v38, s45, v37
	v_cmp_le_u32_e32 vcc, s45, v37
	v_cndmask_b32_e32 v37, v37, v38, vcc
	v_subrev_u32_e32 v38, s45, v37
	v_cmp_le_u32_e32 vcc, s45, v37
	v_cndmask_b32_e32 v37, v37, v38, vcc
	.loc	1 54 38                         ; fp8_utils_aot.py:54:38
	v_or_b32_e32 v38, s57, v161
	.loc	1 54 68                         ; fp8_utils_aot.py:54:68
	v_add_u32_e32 v38, s0, v38
	v_xor_b32_e32 v38, s0, v38
	v_mul_hi_u32 v19, v38, v19
	v_mul_lo_u32 v19, v19, s45
	v_sub_u32_e32 v19, v38, v19
	v_subrev_u32_e32 v38, s45, v19
	v_cmp_le_u32_e32 vcc, s45, v19
	v_cndmask_b32_e32 v19, v19, v38, vcc
	v_subrev_u32_e32 v38, s45, v19
	v_cmp_le_u32_e32 vcc, s45, v19
	v_xor_b32_e32 v4, s0, v4
	v_cndmask_b32_e32 v19, v19, v38, vcc
	v_subrev_u32_e32 v38, s0, v4
	v_xor_b32_e32 v4, s0, v5
	v_subrev_u32_e32 v5, s0, v4
	v_xor_b32_e32 v4, s0, v6
	;; [unrolled: 2-line block ×29, first 2 shown]
	v_xor_b32_e32 v3, s0, v3
	v_subrev_u32_e32 v37, s0, v4
	v_xor_b32_e32 v4, s0, v19
	v_subrev_u32_e32 v3, s0, v3
	v_subrev_u32_e32 v19, s0, v4
	.loc	1 57 67 is_stmt 1               ; fp8_utils_aot.py:57:67
	v_mul_lo_u32 v4, s43, v160
	.loc	1 57 49 is_stmt 0               ; fp8_utils_aot.py:57:49
	v_mad_u64_u32 v[70:71], s[0:1], v3, s42, v[4:5]
	v_accvgpr_write_b32 a84, v70
	v_mad_u64_u32 v[70:71], s[0:1], v38, s42, v[4:5]
	v_accvgpr_write_b32 a86, v70
	;; [unrolled: 2-line block ×3, first 2 shown]
	v_mad_u64_u32 v[70:71], s[0:1], v6, s42, v[4:5]
	v_mad_u64_u32 v[6:7], s[0:1], v7, s42, v[4:5]
	v_accvgpr_write_b32 a92, v6
	v_mad_u64_u32 v[6:7], s[0:1], v8, s42, v[4:5]
	v_accvgpr_write_b32 a94, v6
	;; [unrolled: 2-line block ×18, first 2 shown]
	v_mad_u64_u32 v[6:7], s[0:1], v29, s42, v[4:5]
	s_abs_i32 s2, s41
	v_accvgpr_write_b32 a128, v6
	v_mad_u64_u32 v[6:7], s[0:1], v30, s42, v[4:5]
	v_cvt_f32_u32_e32 v3, s2
	v_accvgpr_write_b32 a130, v6
	v_mad_u64_u32 v[6:7], s[0:1], v31, s42, v[4:5]
	v_accvgpr_write_b32 a132, v6
	v_mad_u64_u32 v[6:7], s[0:1], v32, s42, v[4:5]
	;; [unrolled: 2-line block ×4, first 2 shown]
	v_rcp_iflag_f32_e32 v3, v3
	v_accvgpr_write_b32 a138, v6
	v_mad_u64_u32 v[6:7], s[0:1], v35, s42, v[4:5]
	.loc	1 62 30 is_stmt 1               ; fp8_utils_aot.py:62:30
	v_writelane_b32 v253, s65, 5
	v_accvgpr_write_b32 a140, v6
	.loc	1 57 49                         ; fp8_utils_aot.py:57:49
	v_mad_u64_u32 v[6:7], s[0:1], v36, s42, v[4:5]
	.loc	1 62 30                         ; fp8_utils_aot.py:62:30
	v_writelane_b32 v253, s66, 6
	v_accvgpr_write_b32 a142, v6
	.loc	1 57 49                         ; fp8_utils_aot.py:57:49
	v_mad_u64_u32 v[6:7], s[0:1], v37, s42, v[4:5]
	v_mad_u64_u32 v[4:5], s[0:1], v19, s42, v[4:5]
	.loc	1 62 30                         ; fp8_utils_aot.py:62:30
	v_writelane_b32 v253, s67, 7
	v_mul_f32_e32 v3, 0x4f7ffffe, v3
.Ltmp12:
	.loc	2 43 30                         ; standard.py:43:30 @[ fp8_utils_aot.py:65:33 ]
	s_ashr_i32 s1, s44, 31
.Ltmp13:
	.loc	1 75 33                         ; fp8_utils_aot.py:75:33
	s_lshl_b32 s3, s43, 7
	v_cvt_u32_f32_e32 v3, v3
.Ltmp14:
	.loc	2 43 30                         ; standard.py:43:30 @[ fp8_utils_aot.py:65:33 ]
	s_lshr_b32 s1, s1, 25
	v_writelane_b32 v253, s3, 8
	s_ashr_i32 s3, s3, 31
	s_add_i32 s44, s44, s1
.Ltmp15:
	.loc	1 76 33                         ; fp8_utils_aot.py:76:33
	s_lshl_b32 s1, s6, 7
	v_writelane_b32 v253, s3, 9
	v_writelane_b32 v253, s1, 10
	s_ashr_i32 s1, s1, 31
	v_accvgpr_write_b32 a146, v4
	v_lshlrev_b32_e32 v4, 4, v17
	v_add_u32_e32 v5, 0, v16
	v_writelane_b32 v253, s1, 11
	s_ashr_i32 s1, s41, 31
	v_add3_u32 v162, v5, v4, v18
	v_lshlrev_b32_e32 v4, 2, v0
	v_readfirstlane_b32 s0, v3
	v_writelane_b32 v253, s1, 12
	s_sub_i32 s1, 0, s2
	v_and_b32_e32 v4, 60, v4
	.loc	1 55 68                         ; fp8_utils_aot.py:55:68
	v_xor_b32_e32 v2, s56, v2
	.loc	1 54 51                         ; fp8_utils_aot.py:54:51
	v_bfe_i32 v3, v0, 7, 1
	s_mul_i32 s1, s1, s0
	v_lshl_or_b32 v4, v18, 7, v4
	.loc	1 55 68                         ; fp8_utils_aot.py:55:68
	v_subrev_u32_e32 v2, s56, v2
	v_and_b32_e32 v3, 0x84, v3
	s_mul_hi_u32 s1, s0, s1
	v_xor_b32_e32 v1, v4, v1
	v_xor_b32_e32 v3, v3, v160
	v_writelane_b32 v253, s2, 13
	s_add_i32 s0, s0, s1
	.loc	1 58 25                         ; fp8_utils_aot.py:58:25
	v_or_b32_e32 v4, 64, v161
	v_or_b32_e32 v5, 0x42, v161
	.loc	1 58 67 is_stmt 0               ; fp8_utils_aot.py:58:67
	v_mul_lo_u32 v2, v2, s7
	.loc	1 58 25                         ; fp8_utils_aot.py:58:25
	v_writelane_b32 v253, s0, 14
	v_accvgpr_write_b32 a87, v5
	.loc	1 65 22 is_stmt 1               ; fp8_utils_aot.py:65:22
	v_mad_u64_u32 v[224:225], s[0:1], s6, v5, v[2:3]
	v_accvgpr_write_b32 a85, v4
	v_mad_u64_u32 v[226:227], s[0:1], s6, v4, v[2:3]
	v_mad_u64_u32 v[4:5], s[0:1], s6, v41, v[2:3]
	v_accvgpr_write_b32 a170, v4
	v_mad_u64_u32 v[4:5], s[0:1], s6, v42, v[2:3]
	v_accvgpr_write_b32 a172, v4
	;; [unrolled: 2-line block ×3, first 2 shown]
	v_mad_u64_u32 v[4:5], s[0:1], s6, v44, v[2:3]
	.loc	1 58 25                         ; fp8_utils_aot.py:58:25
	v_or_b32_e32 v34, 0x7c, v161
	v_or_b32_e32 v35, 0x7e, v161
	.loc	1 58 48 is_stmt 0               ; fp8_utils_aot.py:58:48
	v_mad_u64_u32 v[36:37], s[0:1], s6, v161, v[2:3]
	v_accvgpr_write_b32 a176, v4
	.loc	1 65 22 is_stmt 1               ; fp8_utils_aot.py:65:22
	v_mad_u64_u32 v[4:5], s[0:1], s6, v45, v[2:3]
	.loc	1 58 25                         ; fp8_utils_aot.py:58:25
	v_or_b32_e32 v32, 0x78, v161
	v_or_b32_e32 v33, 0x7a, v161
	v_accvgpr_write_b32 a148, v36
	v_accvgpr_write_b32 a147, v35
	.loc	1 65 22                         ; fp8_utils_aot.py:65:22
	v_mad_u64_u32 v[36:37], s[0:1], s6, v35, v[2:3]
	v_accvgpr_write_b32 a145, v34
	v_mad_u64_u32 v[34:35], s[0:1], s6, v34, v[2:3]
	v_accvgpr_write_b32 a178, v4
	v_mad_u64_u32 v[4:5], s[0:1], s6, v46, v[2:3]
	.loc	1 58 25                         ; fp8_utils_aot.py:58:25
	v_or_b32_e32 v30, 0x74, v161
	v_or_b32_e32 v31, 0x76, v161
	v_accvgpr_write_b32 a152, v34
	v_accvgpr_write_b32 a143, v33
	.loc	1 65 22                         ; fp8_utils_aot.py:65:22
	v_mad_u64_u32 v[34:35], s[0:1], s6, v33, v[2:3]
	v_accvgpr_write_b32 a141, v32
	v_mad_u64_u32 v[32:33], s[0:1], s6, v32, v[2:3]
	v_accvgpr_write_b32 a180, v4
	;; [unrolled: 11-line block ×3, first 2 shown]
	v_mad_u64_u32 v[4:5], s[0:1], s6, v48, v[2:3]
	v_accvgpr_write_b32 a144, v6
	.loc	1 58 25                         ; fp8_utils_aot.py:58:25
	v_or_b32_e32 v6, 0x44, v161
	v_or_b32_e32 v7, 0x46, v161
	;; [unrolled: 1-line block ×22, first 2 shown]
	v_accvgpr_write_b32 a160, v30
	v_accvgpr_write_b32 a135, v29
	.loc	1 65 22                         ; fp8_utils_aot.py:65:22
	v_mad_u64_u32 v[30:31], s[0:1], s6, v29, v[2:3]
	v_accvgpr_write_b32 a133, v28
	v_mad_u64_u32 v[28:29], s[0:1], s6, v28, v[2:3]
	v_accvgpr_write_b32 a184, v4
	;; [unrolled: 2-line block ×3, first 2 shown]
	v_accvgpr_write_b32 a154, v34
	v_accvgpr_write_b32 a158, v32
	v_accvgpr_write_b32 a164, v28
	v_accvgpr_write_b32 a131, v27
	v_mad_u64_u32 v[28:29], s[0:1], s6, v27, v[2:3]
	v_accvgpr_write_b32 a129, v26
	v_mad_u64_u32 v[26:27], s[0:1], s6, v26, v[2:3]
	v_mad_u64_u32 v[182:183], s[0:1], s6, v25, v[2:3]
	;; [unrolled: 1-line block ×18, first 2 shown]
	v_accvgpr_write_b32 a93, v8
	v_mad_u64_u32 v[218:219], s[0:1], s6, v8, v[2:3]
	v_accvgpr_write_b32 a91, v7
	v_mad_u64_u32 v[220:221], s[0:1], s6, v7, v[2:3]
	;; [unrolled: 2-line block ×5, first 2 shown]
	v_accvgpr_write_b32 a55, v41
	v_accvgpr_write_b32 a56, v42
	;; [unrolled: 1-line block ×11, first 2 shown]
	v_mad_u64_u32 v[32:33], s[0:1], s6, v50, v[2:3]
	v_accvgpr_write_b32 a65, v51
	v_mad_u64_u32 v[34:35], s[0:1], s6, v51, v[2:3]
	v_accvgpr_write_b32 a66, v52
	;; [unrolled: 2-line block ×17, first 2 shown]
	v_mad_u64_u32 v[66:67], s[0:1], s6, v67, v[2:3]
	v_mad_u64_u32 v[88:89], s[0:1], s6, v68, v[2:3]
	;; [unrolled: 1-line block ×3, first 2 shown]
	v_xor_b32_e32 v2, 8, v3
	v_xor_b32_e32 v4, 16, v3
	v_xor_b32_e32 v5, 24, v3
	v_xor_b32_e32 v6, 32, v3
	v_xor_b32_e32 v7, 40, v3
	v_xor_b32_e32 v8, 48, v3
	v_accvgpr_write_b32 a95, v9
	v_xor_b32_e32 v9, 56, v3
	v_add_u32_e32 v33, 0, v3
	v_add_u32_e32 v35, 0, v2
	;; [unrolled: 1-line block ×7, first 2 shown]
	v_xor_b32_e32 v2, 8, v1
	v_xor_b32_e32 v3, 16, v1
	;; [unrolled: 1-line block ×7, first 2 shown]
	v_accvgpr_write_b32 a109, v16
	v_accvgpr_write_b32 a107, v15
	;; [unrolled: 1-line block ×8, first 2 shown]
	v_add_u32_e32 v47, 0, v9
	v_add_u32_e32 v49, 0, v1
	;; [unrolled: 1-line block ×9, first 2 shown]
	v_or_b32_e32 v1, 0x300, v0
	v_or_b32_e32 v2, 0x700, v0
	;; [unrolled: 1-line block ×16, first 2 shown]
	v_mov_b32_e32 v68, 0
	v_accvgpr_write_b32 a90, v70
.Ltmp16:
	.loc	2 43 30                         ; standard.py:43:30 @[ fp8_utils_aot.py:65:33 ]
	s_ashr_i32 s4, s44, 7
	v_accvgpr_write_b32 a162, v30
	v_accvgpr_write_b32 a166, v28
	;; [unrolled: 1-line block ×13, first 2 shown]
	v_add_u32_e32 v65, 0, v0
	v_add_u32_e32 v67, 0, v1
	;; [unrolled: 1-line block ×17, first 2 shown]
	v_mov_b32_e32 v69, v68
	v_mov_b32_e32 v70, v68
	;; [unrolled: 1-line block ×41, first 2 shown]
	s_branch .LBB0_3
.Ltmp17:
.LBB0_2:                                ;   in Loop: Header=BB0_3 Depth=1
	.loc	2 0 30 is_stmt 0                ; standard.py:0:30
	s_or_b64 exec, exec, s[0:1]
	.loc	1 70 29 is_stmt 1               ; fp8_utils_aot.py:70:29
	s_ashr_i32 s0, s61, 31
	v_readlane_b32 s1, v253, 12
	s_xor_b32 s0, s0, s1
	s_abs_i32 s1, s61
	v_readlane_b32 s2, v253, 14
	s_mul_hi_u32 s2, s1, s2
	v_readlane_b32 s5, v253, 13
	s_mul_i32 s3, s2, s5
	s_sub_i32 s1, s1, s3
	s_add_i32 s3, s2, 1
	s_sub_i32 s4, s1, s5
	s_cmp_ge_u32 s1, s5
	s_cselect_b32 s2, s3, s2
	s_cselect_b32 s1, s4, s1
	s_add_i32 s3, s2, 1
	s_cmp_ge_u32 s1, s5
	s_cselect_b32 s1, s3, s2
	s_xor_b32 s1, s1, s0
	v_readlane_b32 s4, v253, 4
	s_sub_i32 s2, s1, s0
	v_readlane_b32 s5, v253, 5
	.loc	1 71 42                         ; fp8_utils_aot.py:71:42
	s_mul_i32 s0, s2, s5
	.loc	1 71 32 is_stmt 0               ; fp8_utils_aot.py:71:32
	s_ashr_i32 s1, s0, 31
	.loc	1 67 20 is_stmt 1               ; fp8_utils_aot.py:67:20
	s_waitcnt lgkmcnt(0)
	s_barrier
	s_waitcnt vmcnt(0)
	ds_write_b8 v65, v0
	ds_write_b8 v65, v2 offset:256
	ds_write_b8 v65, v1 offset:512
	ds_write_b8 v67, v4
	ds_write_b8 v65, v3 offset:1024
	ds_write_b8 v65, v6 offset:1280
	ds_write_b8 v65, v5 offset:1536
	ds_write_b8 v89, v9
	ds_write_b8 v65, v8 offset:2048
	;; [unrolled: 4-line block ×15, first 2 shown]
	ds_write_b8 v65, v180 offset:15616
	ds_write_b8 v65, v178 offset:15872
	ds_write_b8 v191, v229
	.loc	1 71 32                         ; fp8_utils_aot.py:71:32
	s_lshl_b64 s[0:1], s[0:1], 2
	v_accvgpr_read_b32 v2, a18
	v_mov_b32_e32 v0, s1
	v_add_co_u32_e32 v108, vcc, s0, v2
	v_accvgpr_read_b32 v1, a17
	v_readlane_b32 s6, v253, 6
	v_addc_co_u32_e32 v109, vcc, v1, v0, vcc
	v_accvgpr_read_b32 v2, a20
	v_add_co_u32_e32 v110, vcc, s0, v2
	.loc	1 72 42                         ; fp8_utils_aot.py:72:42
	s_mul_i32 s0, s2, s6
	v_accvgpr_read_b32 v1, a19
	.loc	1 72 32 is_stmt 0               ; fp8_utils_aot.py:72:32
	s_ashr_i32 s1, s0, 31
	.loc	1 71 32 is_stmt 1               ; fp8_utils_aot.py:71:32
	v_addc_co_u32_e32 v111, vcc, v1, v0, vcc
	.loc	1 72 32                         ; fp8_utils_aot.py:72:32
	s_lshl_b64 s[0:1], s[0:1], 2
	v_accvgpr_read_b32 v0, a22
	v_mov_b32_e32 v6, s1
	v_add_co_u32_e32 v0, vcc, s0, v0
	v_accvgpr_read_b32 v1, a21
	v_addc_co_u32_e32 v1, vcc, v1, v6, vcc
	v_accvgpr_read_b32 v2, a24
	v_add_co_u32_e32 v2, vcc, s0, v2
	v_accvgpr_read_b32 v3, a23
	v_addc_co_u32_e32 v3, vcc, v3, v6, vcc
	v_accvgpr_read_b32 v4, a26
	;; [unrolled: 4-line block ×15, first 2 shown]
	.loc	1 0 0 is_stmt 0                 ; fp8_utils_aot.py:0
	v_lshrrev_b32_e32 v244, 8, v142
	.loc	1 72 32                         ; fp8_utils_aot.py:72:32
	v_add_co_u32_e32 v242, vcc, s0, v22
	v_accvgpr_read_b32 v19, a51
	.loc	1 67 20 is_stmt 1               ; fp8_utils_aot.py:67:20
	s_waitcnt lgkmcnt(0)
	s_barrier
	.loc	1 72 32                         ; fp8_utils_aot.py:72:32
	v_addc_co_u32_e32 v243, vcc, v19, v6, vcc
	.loc	1 72 22 is_stmt 0               ; fp8_utils_aot.py:72:22
	global_load_dword v94, v[0:1], off
	global_load_dword v95, v[2:3], off
	;; [unrolled: 1-line block ×6, first 2 shown]
	s_nop 0
	global_load_dword v100, v[100:101], off
	s_nop 0
	global_load_dword v101, v[102:103], off
	;; [unrolled: 2-line block ×3, first 2 shown]
	global_load_dword v103, v[106:107], off
	s_nop 0
	global_load_dword v104, v[148:149], off
	global_load_dword v105, v[234:235], off
	;; [unrolled: 1-line block ×6, first 2 shown]
	.loc	1 66 20 is_stmt 1               ; fp8_utils_aot.py:66:20
	v_lshlrev_b16_e32 v4, 7, v244
	v_lshlrev_b16_e32 v1, 7, v142
	v_and_b32_e32 v4, 0x3f80, v4
	v_and_b32_e32 v5, 0x7f, v244
	s_movk_i32 s0, 0x7f
	v_and_b32_e32 v2, 0x3f80, v1
	v_and_b32_e32 v3, 0x7f, v142
	v_add_u16_e32 v4, 0x2000, v4
	v_cmp_ne_u16_e32 vcc, s0, v5
	v_add_u16_e32 v2, 0x2000, v2
	v_cndmask_b32_e32 v4, v193, v4, vcc
	v_cmp_ne_u16_e32 vcc, s0, v3
	v_cndmask_b32_e32 v2, v193, v2, vcc
	v_cmp_ne_u16_e32 vcc, 0, v5
	;; [unrolled: 2-line block ×16, first 2 shown]
	v_lshlrev_b16_sdwa v19, v213, v142 dst_sel:DWORD dst_unused:UNUSED_PAD src0_sel:DWORD src1_sel:BYTE_3
	v_cndmask_b32_e32 v2, v209, v4, vcc
	v_cmp_ne_u16_e32 vcc, 7, v3
	v_lshlrev_b16_sdwa v5, v213, v142 dst_sel:DWORD dst_unused:UNUSED_PAD src0_sel:DWORD src1_sel:WORD_1
	v_and_b32_e32 v19, 0x3f80, v19
	v_and_b32_sdwa v20, v142, s0 dst_sel:DWORD dst_unused:UNUSED_PAD src0_sel:BYTE_3 src1_sel:DWORD
	v_cndmask_b32_e32 v3, v209, v6, vcc
	v_and_b32_e32 v5, 0x3f80, v5
	v_and_b32_sdwa v6, v142, s0 dst_sel:DWORD dst_unused:UNUSED_PAD src0_sel:WORD_1 src1_sel:DWORD
	v_add_u16_e32 v19, 0x2000, v19
	v_cmp_ne_u16_e32 vcc, s0, v20
	v_add_u16_e32 v5, 0x2000, v5
	v_cndmask_b32_e32 v19, v193, v19, vcc
	v_cmp_ne_u16_e32 vcc, s0, v6
	v_cndmask_b32_e32 v5, v193, v5, vcc
	v_cmp_ne_u16_e32 vcc, 0, v20
	;; [unrolled: 2-line block ×16, first 2 shown]
	.loc	1 0 0 is_stmt 0                 ; fp8_utils_aot.py:0
	v_lshrrev_b32_e32 v13, 8, v140
	.loc	1 66 20                         ; fp8_utils_aot.py:66:20
	v_cndmask_b32_e32 v5, v209, v19, vcc
	v_cmp_ne_u16_e32 vcc, 7, v6
	v_cndmask_b32_e32 v6, v209, v21, vcc
	v_lshlrev_b16_e32 v21, 7, v13
	v_lshlrev_b16_e32 v19, 7, v140
	v_and_b32_e32 v21, 0x3f80, v21
	v_and_b32_e32 v22, 0x7f, v13
	;; [unrolled: 1-line block ×4, first 2 shown]
	v_add_u16_e32 v21, 0x2000, v21
	v_cmp_ne_u16_e32 vcc, s0, v22
	v_add_u16_e32 v19, 0x2000, v19
	v_cndmask_b32_e32 v21, v193, v21, vcc
	v_cmp_ne_u16_e32 vcc, s0, v20
	v_cndmask_b32_e32 v19, v193, v19, vcc
	v_cmp_ne_u16_e32 vcc, 0, v22
	;; [unrolled: 2-line block ×15, first 2 shown]
	v_lshlrev_b16_sdwa v21, v213, v140 dst_sel:DWORD dst_unused:UNUSED_PAD src0_sel:DWORD src1_sel:BYTE_3
	v_cndmask_b32_e32 v31, v207, v19, vcc
	v_cmp_ne_u16_e64 s[26:27], 7, v22
	v_lshlrev_b16_sdwa v19, v213, v140 dst_sel:DWORD dst_unused:UNUSED_PAD src0_sel:DWORD src1_sel:WORD_1
	v_and_b32_e32 v21, 0x3f80, v21
	v_and_b32_sdwa v22, v140, s0 dst_sel:DWORD dst_unused:UNUSED_PAD src0_sel:BYTE_3 src1_sel:DWORD
	v_cmp_ne_u16_e64 s[28:29], 7, v20
	v_and_b32_e32 v19, 0x3f80, v19
	v_and_b32_sdwa v20, v140, s0 dst_sel:DWORD dst_unused:UNUSED_PAD src0_sel:WORD_1 src1_sel:DWORD
	v_add_u16_e32 v21, 0x2000, v21
	v_cmp_ne_u16_e32 vcc, s0, v22
	v_add_u16_e32 v19, 0x2000, v19
	v_cndmask_b32_e32 v21, v193, v21, vcc
	v_cmp_ne_u16_e32 vcc, s0, v20
	v_cndmask_b32_e32 v19, v193, v19, vcc
	v_cmp_ne_u16_e32 vcc, 0, v22
	;; [unrolled: 2-line block ×13, first 2 shown]
	.loc	1 0 0                           ; fp8_utils_aot.py:0
	v_lshrrev_b32_e32 v145, 8, v138
	.loc	1 66 20                         ; fp8_utils_aot.py:66:20
	v_cndmask_b32_e32 v19, v205, v19, vcc
	v_cmp_ne_u16_e32 vcc, 6, v22
	v_cndmask_b32_e32 v163, v207, v21, vcc
	v_cmp_ne_u16_e32 vcc, 6, v20
	v_lshlrev_b16_e32 v21, 7, v145
	v_cndmask_b32_e32 v245, v207, v19, vcc
	v_cmp_ne_u16_e64 s[30:31], 7, v22
	v_lshlrev_b16_e32 v19, 7, v138
	v_and_b32_e32 v21, 0x3f80, v21
	v_and_b32_e32 v22, 0x7f, v145
	v_cmp_ne_u16_e64 s[34:35], 7, v20
	v_and_b32_e32 v19, 0x3f80, v19
	v_and_b32_e32 v20, 0x7f, v138
	v_add_u16_e32 v21, 0x2000, v21
	v_cmp_ne_u16_e32 vcc, s0, v22
	v_add_u16_e32 v19, 0x2000, v19
	v_cndmask_b32_e32 v21, v193, v21, vcc
	v_cmp_ne_u16_e32 vcc, s0, v20
	v_cndmask_b32_e32 v19, v193, v19, vcc
	v_cmp_ne_u16_e32 vcc, 0, v22
	;; [unrolled: 2-line block ×15, first 2 shown]
	s_movk_i32 s4, 0x7f
	v_lshlrev_b16_sdwa v21, v213, v138 dst_sel:DWORD dst_unused:UNUSED_PAD src0_sel:DWORD src1_sel:BYTE_3
	v_cndmask_b32_e32 v148, v207, v19, vcc
	v_cmp_ne_u16_e32 vcc, 7, v22
	v_lshlrev_b16_sdwa v19, v213, v138 dst_sel:DWORD dst_unused:UNUSED_PAD src0_sel:DWORD src1_sel:WORD_1
	v_and_b32_e32 v21, 0x3f80, v21
	v_and_b32_sdwa v22, v138, s4 dst_sel:DWORD dst_unused:UNUSED_PAD src0_sel:BYTE_3 src1_sel:DWORD
	v_cmp_ne_u16_e64 s[0:1], 7, v20
	v_and_b32_e32 v19, 0x3f80, v19
	v_and_b32_sdwa v20, v138, s4 dst_sel:DWORD dst_unused:UNUSED_PAD src0_sel:WORD_1 src1_sel:DWORD
	v_add_u16_e32 v21, 0x2000, v21
	v_cmp_ne_u16_e64 s[2:3], s4, v22
	v_add_u16_e32 v19, 0x2000, v19
	v_cndmask_b32_e64 v21, v193, v21, s[2:3]
	v_cmp_ne_u16_e64 s[2:3], s4, v20
	v_cndmask_b32_e64 v19, v193, v19, s[2:3]
	v_cmp_ne_u16_e64 s[2:3], 0, v22
	v_cndmask_b32_e64 v21, 0, v21, s[2:3]
	v_cmp_ne_u16_e64 s[2:3], 0, v20
	v_cndmask_b32_e64 v19, 0, v19, s[2:3]
	v_cmp_ne_u16_e64 s[2:3], 1, v22
	v_cndmask_b32_e64 v21, v195, v21, s[2:3]
	v_cmp_ne_u16_e64 s[2:3], 1, v20
	v_cndmask_b32_e64 v19, v195, v19, s[2:3]
	v_cmp_ne_u16_e64 s[2:3], 2, v22
	v_cndmask_b32_e64 v21, v197, v21, s[2:3]
	v_cmp_ne_u16_e64 s[2:3], 2, v20
	v_cndmask_b32_e64 v19, v197, v19, s[2:3]
	v_cmp_ne_u16_e64 s[2:3], 3, v22
	v_cndmask_b32_e64 v21, v199, v21, s[2:3]
	v_cmp_ne_u16_e64 s[2:3], 3, v20
	v_cndmask_b32_e64 v19, v199, v19, s[2:3]
	v_cmp_ne_u16_e64 s[2:3], 4, v22
	v_cndmask_b32_e64 v21, v201, v21, s[2:3]
	v_cmp_ne_u16_e64 s[2:3], 4, v20
	v_cndmask_b32_e64 v19, v201, v19, s[2:3]
	v_cmp_ne_u16_e64 s[2:3], 5, v22
	v_cndmask_b32_e64 v21, v205, v21, s[2:3]
	v_cmp_ne_u16_e64 s[2:3], 5, v20
	.loc	1 0 0                           ; fp8_utils_aot.py:0
	v_lshrrev_b32_e32 v144, 8, v136
	.loc	1 66 20                         ; fp8_utils_aot.py:66:20
	v_cndmask_b32_e64 v19, v205, v19, s[2:3]
	v_cmp_ne_u16_e64 s[2:3], 6, v22
	v_cndmask_b32_e64 v149, v207, v21, s[2:3]
	v_cmp_ne_u16_e64 s[2:3], 6, v20
	v_lshlrev_b16_e32 v21, 7, v144
	v_cndmask_b32_e64 v239, v207, v19, s[2:3]
	v_cmp_ne_u16_e64 s[10:11], 7, v22
	v_lshlrev_b16_e32 v19, 7, v136
	v_and_b32_e32 v21, 0x3f80, v21
	v_and_b32_e32 v22, 0x7f, v144
	v_cmp_ne_u16_e64 s[12:13], 7, v20
	v_and_b32_e32 v19, 0x3f80, v19
	v_and_b32_e32 v20, 0x7f, v136
	v_add_u16_e32 v21, 0x2000, v21
	v_cmp_ne_u16_e64 s[2:3], s4, v22
	v_add_u16_e32 v19, 0x2000, v19
	v_cndmask_b32_e64 v21, v193, v21, s[2:3]
	v_cmp_ne_u16_e64 s[2:3], s4, v20
	v_cndmask_b32_e64 v19, v193, v19, s[2:3]
	v_cmp_ne_u16_e64 s[2:3], 0, v22
	;; [unrolled: 2-line block ×15, first 2 shown]
	s_movk_i32 s14, 0x7f
	v_lshlrev_b16_sdwa v21, v213, v136 dst_sel:DWORD dst_unused:UNUSED_PAD src0_sel:DWORD src1_sel:BYTE_3
	v_readlane_b32 s7, v253, 7
	v_cndmask_b32_e64 v237, v207, v19, s[2:3]
	v_cmp_ne_u16_e64 s[2:3], 7, v22
	v_lshlrev_b16_sdwa v19, v213, v136 dst_sel:DWORD dst_unused:UNUSED_PAD src0_sel:DWORD src1_sel:WORD_1
	v_and_b32_e32 v21, 0x3f80, v21
	v_and_b32_sdwa v22, v136, s14 dst_sel:DWORD dst_unused:UNUSED_PAD src0_sel:BYTE_3 src1_sel:DWORD
	v_cmp_ne_u16_e64 s[4:5], 7, v20
	v_and_b32_e32 v19, 0x3f80, v19
	v_and_b32_sdwa v20, v136, s14 dst_sel:DWORD dst_unused:UNUSED_PAD src0_sel:WORD_1 src1_sel:DWORD
	v_add_u16_e32 v21, 0x2000, v21
	v_cmp_ne_u16_e64 s[6:7], s14, v22
	v_add_u16_e32 v19, 0x2000, v19
	v_cndmask_b32_e64 v21, v193, v21, s[6:7]
	v_cmp_ne_u16_e64 s[6:7], s14, v20
	v_cndmask_b32_e64 v19, v193, v19, s[6:7]
	v_cmp_ne_u16_e64 s[6:7], 0, v22
	;; [unrolled: 2-line block ×13, first 2 shown]
	.loc	1 0 0                           ; fp8_utils_aot.py:0
	v_lshrrev_b32_e32 v7, 8, v126
	.loc	1 66 20                         ; fp8_utils_aot.py:66:20
	v_cndmask_b32_e64 v19, v205, v19, s[6:7]
	v_cmp_ne_u16_e64 s[6:7], 6, v22
	v_cndmask_b32_e64 v241, v207, v21, s[6:7]
	v_cmp_ne_u16_e64 s[6:7], 6, v20
	v_lshlrev_b16_e32 v21, 7, v7
	s_movk_i32 s33, 0x7f
	v_cndmask_b32_e64 v243, v207, v19, s[6:7]
	v_cmp_ne_u16_e64 s[14:15], 7, v22
	v_lshlrev_b16_e32 v19, 7, v126
	v_and_b32_e32 v21, 0x3f80, v21
	v_and_b32_e32 v22, 0x7f, v7
	v_cmp_ne_u16_e64 s[16:17], 7, v20
	v_and_b32_e32 v19, 0x3f80, v19
	v_and_b32_e32 v20, 0x7f, v126
	v_add_u16_e32 v21, 0x2000, v21
	v_cmp_ne_u16_e64 s[6:7], s33, v22
	v_add_u16_e32 v19, 0x2000, v19
	v_cndmask_b32_e64 v21, v193, v21, s[6:7]
	v_cmp_ne_u16_e64 s[6:7], s33, v20
	v_cndmask_b32_e64 v19, v193, v19, s[6:7]
	v_cmp_ne_u16_e64 s[6:7], 0, v22
	v_cndmask_b32_e64 v21, 0, v21, s[6:7]
	v_cmp_ne_u16_e64 s[6:7], 0, v20
	v_cndmask_b32_e64 v19, 0, v19, s[6:7]
	v_cmp_ne_u16_e64 s[6:7], 1, v22
	v_cndmask_b32_e64 v21, v195, v21, s[6:7]
	v_cmp_ne_u16_e64 s[6:7], 1, v20
	v_cndmask_b32_e64 v19, v195, v19, s[6:7]
	v_cmp_ne_u16_e64 s[6:7], 2, v22
	v_cndmask_b32_e64 v21, v197, v21, s[6:7]
	v_cmp_ne_u16_e64 s[6:7], 2, v20
	v_cndmask_b32_e64 v19, v197, v19, s[6:7]
	v_cmp_ne_u16_e64 s[6:7], 3, v22
	v_cndmask_b32_e64 v21, v199, v21, s[6:7]
	v_cmp_ne_u16_e64 s[6:7], 3, v20
	v_cndmask_b32_e64 v19, v199, v19, s[6:7]
	v_cmp_ne_u16_e64 s[6:7], 4, v22
	v_cndmask_b32_e64 v21, v201, v21, s[6:7]
	v_cmp_ne_u16_e64 s[6:7], 4, v20
	v_cndmask_b32_e64 v19, v201, v19, s[6:7]
	v_cmp_ne_u16_e64 s[6:7], 5, v22
	v_cndmask_b32_e64 v21, v205, v21, s[6:7]
	v_cmp_ne_u16_e64 s[6:7], 5, v20
	v_cndmask_b32_e64 v19, v205, v19, s[6:7]
	v_cmp_ne_u16_e64 s[6:7], 6, v22
	v_cndmask_b32_e64 v247, v207, v21, s[6:7]
	v_cmp_ne_u16_e64 s[6:7], 6, v20
	v_cmp_ne_u16_e64 s[48:49], 7, v20
	v_lshlrev_b16_sdwa v20, v213, v126 dst_sel:DWORD dst_unused:UNUSED_PAD src0_sel:DWORD src1_sel:BYTE_3
	v_cndmask_b32_e64 v249, v207, v19, s[6:7]
	v_cmp_ne_u16_e64 s[46:47], 7, v22
	v_lshlrev_b16_sdwa v19, v213, v126 dst_sel:DWORD dst_unused:UNUSED_PAD src0_sel:DWORD src1_sel:WORD_1
	v_and_b32_e32 v20, 0x3f80, v20
	v_and_b32_sdwa v22, v126, s33 dst_sel:DWORD dst_unused:UNUSED_PAD src0_sel:BYTE_3 src1_sel:DWORD
	v_and_b32_e32 v19, 0x3f80, v19
	v_and_b32_sdwa v21, v126, s33 dst_sel:DWORD dst_unused:UNUSED_PAD src0_sel:WORD_1 src1_sel:DWORD
	v_add_u16_e32 v20, 0x2000, v20
	v_cmp_ne_u16_e64 s[6:7], s33, v22
	v_add_u16_e32 v19, 0x2000, v19
	v_cndmask_b32_e64 v20, v193, v20, s[6:7]
	v_cmp_ne_u16_e64 s[6:7], s33, v21
	v_cndmask_b32_e64 v19, v193, v19, s[6:7]
	v_cmp_ne_u16_e64 s[6:7], 0, v22
	v_cndmask_b32_e64 v20, 0, v20, s[6:7]
	v_cmp_ne_u16_e64 s[6:7], 0, v21
	v_cndmask_b32_e64 v19, 0, v19, s[6:7]
	v_cmp_ne_u16_e64 s[6:7], 1, v22
	v_cndmask_b32_e64 v20, v195, v20, s[6:7]
	v_cmp_ne_u16_e64 s[6:7], 1, v21
	v_cndmask_b32_e64 v19, v195, v19, s[6:7]
	v_cmp_ne_u16_e64 s[6:7], 2, v22
	v_cndmask_b32_e64 v20, v197, v20, s[6:7]
	v_cmp_ne_u16_e64 s[6:7], 2, v21
	v_cndmask_b32_e64 v19, v197, v19, s[6:7]
	v_cmp_ne_u16_e64 s[6:7], 3, v22
	v_cndmask_b32_e64 v20, v199, v20, s[6:7]
	v_cmp_ne_u16_e64 s[6:7], 3, v21
	v_cndmask_b32_e64 v19, v199, v19, s[6:7]
	v_cmp_ne_u16_e64 s[6:7], 4, v22
	v_cndmask_b32_e64 v20, v201, v20, s[6:7]
	v_cmp_ne_u16_e64 s[6:7], 4, v21
	v_cndmask_b32_e64 v19, v201, v19, s[6:7]
	v_cmp_ne_u16_e64 s[6:7], 5, v22
	v_cndmask_b32_e64 v20, v205, v20, s[6:7]
	v_cmp_ne_u16_e64 s[6:7], 5, v21
	v_cndmask_b32_e64 v19, v205, v19, s[6:7]
	v_cmp_ne_u16_e64 s[6:7], 6, v22
	.loc	1 0 0                           ; fp8_utils_aot.py:0
	v_lshrrev_b32_e32 v18, 8, v124
	.loc	1 66 20                         ; fp8_utils_aot.py:66:20
	v_cndmask_b32_e64 v20, v207, v20, s[6:7]
	v_cmp_ne_u16_e64 s[6:7], 6, v21
	v_cmp_ne_u16_e64 s[18:19], 7, v21
	v_lshlrev_b16_e32 v21, 7, v124
	v_cmp_ne_u16_e64 s[20:21], 7, v22
	v_and_b32_e32 v22, 0x3f80, v21
	v_lshlrev_b16_e32 v21, 7, v18
	v_and_b32_e32 v21, 0x3f80, v21
	v_and_b32_e32 v164, 0x7f, v18
	v_cndmask_b32_e64 v19, v207, v19, s[6:7]
	v_add_u16_e32 v21, 0x2000, v21
	v_cmp_ne_u16_e64 s[6:7], s33, v164
	v_cndmask_b32_e64 v21, v193, v21, s[6:7]
	v_cmp_ne_u16_e64 s[6:7], 0, v164
	v_cndmask_b32_e64 v21, 0, v21, s[6:7]
	;; [unrolled: 2-line block ×7, first 2 shown]
	v_cmp_ne_u16_e64 s[6:7], 6, v164
	v_cmp_ne_u16_e64 s[22:23], 7, v164
	v_and_b32_e32 v164, 0x7f, v124
	v_cndmask_b32_e64 v21, v207, v21, s[6:7]
	v_add_u16_e32 v22, 0x2000, v22
	v_cmp_ne_u16_e64 s[6:7], s33, v164
	v_cndmask_b32_e64 v22, v193, v22, s[6:7]
	v_cmp_ne_u16_e64 s[6:7], 0, v164
	v_cndmask_b32_e64 v22, 0, v22, s[6:7]
	;; [unrolled: 2-line block ×5, first 2 shown]
	v_cmp_ne_u16_e64 s[6:7], 4, v164
	.loc	1 67 20 is_stmt 1               ; fp8_utils_aot.py:67:20
	ds_read_u8 v27, v162
	ds_read_u8 v25, v162 offset:128
	ds_read_u8 v28, v162 offset:256
	;; [unrolled: 1-line block ×7, first 2 shown]
	.loc	1 66 20                         ; fp8_utils_aot.py:66:20
	v_cndmask_b32_e64 v22, v201, v22, s[6:7]
	v_cmp_ne_u16_e64 s[6:7], 5, v164
	v_cndmask_b32_e64 v22, v205, v22, s[6:7]
	v_cmp_ne_u16_e64 s[6:7], 6, v164
	v_cmp_ne_u16_e64 s[24:25], 7, v164
	.loc	1 67 20                         ; fp8_utils_aot.py:67:20
	s_waitcnt lgkmcnt(4)
	v_lshlrev_b16_e32 v164, 7, v29
	v_lshlrev_b16_e32 v17, 8, v29
	v_and_b32_e32 v164, 0x3f80, v164
	v_and_b32_e32 v29, 0x7f, v29
	.loc	1 66 20                         ; fp8_utils_aot.py:66:20
	v_cndmask_b32_e64 v22, v207, v22, s[6:7]
	.loc	1 67 20                         ; fp8_utils_aot.py:67:20
	v_add_u16_e32 v164, 0x2000, v164
	v_cmp_ne_u16_e64 s[6:7], s33, v29
	v_cndmask_b32_e64 v164, v193, v164, s[6:7]
	v_cmp_ne_u16_e64 s[6:7], 0, v29
	v_cndmask_b32_e64 v164, 0, v164, s[6:7]
	v_cmp_ne_u16_e64 s[6:7], 1, v29
	v_cndmask_b32_e64 v164, v195, v164, s[6:7]
	v_cmp_ne_u16_e64 s[6:7], 2, v29
	v_cndmask_b32_e64 v164, v197, v164, s[6:7]
	v_cmp_ne_u16_e64 s[6:7], 3, v29
	v_cndmask_b32_e64 v164, v199, v164, s[6:7]
	v_cmp_ne_u16_e64 s[6:7], 4, v29
	v_cndmask_b32_e64 v164, v201, v164, s[6:7]
	v_cmp_ne_u16_e64 s[6:7], 5, v29
	v_cndmask_b32_e64 v164, v205, v164, s[6:7]
	v_cmp_ne_u16_e64 s[6:7], 6, v29
	v_cmp_ne_u16_e64 s[50:51], 7, v29
	v_lshlrev_b16_e32 v29, 7, v28
	v_lshlrev_b16_e32 v23, 8, v28
	v_and_b32_e32 v29, 0x3f80, v29
	v_and_b32_e32 v28, 0x7f, v28
	v_cndmask_b32_e64 v168, v207, v164, s[6:7]
	v_add_u16_e32 v29, 0x2000, v29
	v_cmp_ne_u16_e64 s[6:7], s33, v28
	v_cndmask_b32_e64 v29, v193, v29, s[6:7]
	v_cmp_ne_u16_e64 s[6:7], 0, v28
	v_cndmask_b32_e64 v29, 0, v29, s[6:7]
	;; [unrolled: 2-line block ×3, first 2 shown]
	v_cmp_ne_u16_e64 s[6:7], 2, v28
	v_writelane_b32 v253, s8, 19
	v_lshlrev_b16_e32 v26, 8, v27
	v_cndmask_b32_e64 v29, v197, v29, s[6:7]
	v_cmp_ne_u16_e64 s[6:7], 3, v28
	v_cmp_ne_u16_e64 s[36:37], 4, v28
	;; [unrolled: 1-line block ×5, first 2 shown]
	v_and_b32_e32 v28, 0x7f, v27
	v_writelane_b32 v253, s9, 20
	v_lshlrev_b16_e32 v27, 7, v27
	v_lshlrev_b16_e32 v24, 8, v25
	v_cndmask_b32_e64 v29, v199, v29, s[6:7]
	v_cmp_ne_u16_e64 s[6:7], s33, v28
	v_cmp_ne_u16_e64 s[44:45], 0, v28
	;; [unrolled: 1-line block ×5, first 2 shown]
	v_writelane_b32 v253, s61, 21
	v_cmp_ne_u16_e64 s[60:61], 4, v28
	v_cmp_ne_u16_e64 s[68:69], 5, v28
	;; [unrolled: 1-line block ×4, first 2 shown]
	v_and_b32_e32 v28, 0x7f, v25
	v_and_b32_e32 v27, 0x3f80, v27
	v_lshlrev_b16_e32 v25, 7, v25
	v_add_u16_e32 v27, 0x2000, v27
	v_and_b32_e32 v25, 0x3f80, v25
	v_cndmask_b32_e64 v27, v193, v27, s[6:7]
	v_cmp_ne_u16_e64 s[42:43], s33, v28
	v_add_u16_e32 v25, 0x2000, v25
	v_cndmask_b32_e64 v27, 0, v27, s[44:45]
	v_cmp_ne_u16_e64 s[44:45], 0, v28
	v_cndmask_b32_e64 v25, v193, v25, s[42:43]
	v_cndmask_b32_e64 v27, v195, v27, s[54:55]
	v_cmp_ne_u16_e64 s[66:67], 1, v28
	v_cndmask_b32_e64 v25, 0, v25, s[44:45]
	;; [unrolled: 3-line block ×5, first 2 shown]
	v_cmp_ne_u16_e64 s[58:59], 5, v28
	v_cndmask_b32_e64 v25, v201, v25, s[60:61]
	v_cmp_ne_u16_e64 s[56:57], 6, v28
	v_cndmask_b32_e64 v25, v205, v25, s[58:59]
	;; [unrolled: 2-line block ×3, first 2 shown]
	v_and_b32_e32 v24, 0xffff8000, v24
	v_cndmask_b32_e64 v25, v209, v25, s[54:55]
	v_or_b32_e32 v28, v25, v24
	.loc	1 66 20                         ; fp8_utils_aot.py:66:20
	v_cndmask_b32_e64 v25, v209, v30, s[26:27]
	.loc	1 67 20                         ; fp8_utils_aot.py:67:20
	v_and_b32_e32 v17, 0xffff8000, v17
	v_cndmask_b32_e64 v30, v209, v168, s[50:51]
	v_or_b32_e32 v30, v30, v17
	s_waitcnt lgkmcnt(0)
	v_lshlrev_b16_e32 v17, 7, v16
	v_lshlrev_b16_e32 v9, 8, v16
	v_and_b32_e32 v17, 0x3f80, v17
	v_and_b32_e32 v16, 0x7f, v16
	v_add_u16_e32 v17, 0x2000, v17
	v_cmp_ne_u16_e64 s[6:7], s33, v16
	v_cndmask_b32_e64 v17, v193, v17, s[6:7]
	v_cmp_ne_u16_e64 s[6:7], 0, v16
	v_cndmask_b32_e64 v17, 0, v17, s[6:7]
	;; [unrolled: 2-line block ×8, first 2 shown]
	v_cmp_ne_u16_e64 s[6:7], 7, v16
	v_lshlrev_b16_e32 v16, 7, v15
	v_lshlrev_b16_e32 v8, 8, v15
	v_and_b32_e32 v16, 0x3f80, v16
	v_and_b32_e32 v15, 0x7f, v15
	v_add_u16_e32 v16, 0x2000, v16
	v_cmp_ne_u16_e64 s[8:9], s33, v15
	v_cndmask_b32_e64 v16, v193, v16, s[8:9]
	v_cmp_ne_u16_e64 s[8:9], 0, v15
	v_cndmask_b32_e64 v16, 0, v16, s[8:9]
	;; [unrolled: 2-line block ×8, first 2 shown]
	v_cmp_ne_u16_e64 s[8:9], 7, v15
	v_lshlrev_b16_e32 v15, 7, v14
	v_lshlrev_b16_e32 v10, 8, v14
	v_and_b32_e32 v15, 0x3f80, v15
	v_and_b32_e32 v14, 0x7f, v14
	v_add_u16_e32 v15, 0x2000, v15
	v_cmp_ne_u16_e64 s[26:27], s33, v14
	v_cndmask_b32_e64 v15, v193, v15, s[26:27]
	v_cmp_ne_u16_e64 s[26:27], 0, v14
	v_cndmask_b32_e64 v27, v205, v27, s[68:69]
	v_cndmask_b32_e64 v15, 0, v15, s[26:27]
	v_cmp_ne_u16_e64 s[26:27], 1, v14
	v_cndmask_b32_e64 v27, v207, v27, s[70:71]
	;; [unrolled: 3-line block ×3, first 2 shown]
	v_and_b32_e32 v26, 0xffff8000, v26
	v_cndmask_b32_e64 v15, v197, v15, s[26:27]
	v_cmp_ne_u16_e64 s[26:27], 3, v14
	v_or_b32_e32 v26, v27, v26
	v_cndmask_b32_e64 v27, v201, v29, s[36:37]
	v_cndmask_b32_e64 v15, v199, v15, s[26:27]
	v_cmp_ne_u16_e64 s[26:27], 4, v14
	v_cndmask_b32_e64 v27, v205, v27, s[38:39]
	v_cndmask_b32_e64 v15, v201, v15, s[26:27]
	v_cmp_ne_u16_e64 s[26:27], 5, v14
	v_lshlrev_b16_e32 v11, 8, v12
	v_cndmask_b32_e64 v29, v207, v27, s[40:41]
	.loc	1 66 20                         ; fp8_utils_aot.py:66:20
	v_cndmask_b32_e64 v27, v209, v31, s[28:29]
	.loc	1 67 20                         ; fp8_utils_aot.py:67:20
	v_cndmask_b32_e64 v15, v205, v15, s[26:27]
	v_cmp_ne_u16_e64 s[28:29], 6, v14
	v_cmp_ne_u16_e64 s[26:27], 7, v14
	v_and_b32_e32 v14, 0x7f, v12
	v_lshlrev_b16_e32 v12, 7, v12
	.loc	1 66 20                         ; fp8_utils_aot.py:66:20
	v_lshlrev_b16_e32 v24, 8, v13
	.loc	1 67 20                         ; fp8_utils_aot.py:67:20
	v_and_b32_e32 v13, 0xffff8000, v23
	v_cndmask_b32_e64 v23, v209, v29, s[52:53]
	v_and_b32_e32 v12, 0x3f80, v12
	v_or_b32_e32 v23, v23, v13
	.loc	1 66 20                         ; fp8_utils_aot.py:66:20
	v_cndmask_b32_e64 v13, v209, v163, s[30:31]
	.loc	1 67 20                         ; fp8_utils_aot.py:67:20
	v_cmp_ne_u16_e64 s[30:31], s33, v14
	v_add_u16_e32 v12, 0x2000, v12
	.loc	1 66 20                         ; fp8_utils_aot.py:66:20
	v_cndmask_b32_e64 v29, v209, v245, s[34:35]
	.loc	1 67 20                         ; fp8_utils_aot.py:67:20
	v_cmp_ne_u16_e64 s[34:35], 0, v14
	v_cndmask_b32_e64 v12, v193, v12, s[30:31]
	v_cmp_ne_u16_e64 s[50:51], 1, v14
	v_cndmask_b32_e64 v12, 0, v12, s[34:35]
	;; [unrolled: 2-line block ×4, first 2 shown]
	v_cndmask_b32_e64 v12, v197, v12, s[52:53]
	v_cmp_ne_u16_e64 s[56:57], 4, v14
	v_cndmask_b32_e64 v12, v199, v12, s[54:55]
	.loc	1 66 20                         ; fp8_utils_aot.py:66:20
	v_lshlrev_b16_e32 v245, 8, v7
	.loc	1 67 20                         ; fp8_utils_aot.py:67:20
	v_and_b32_e32 v7, 0xffff8000, v10
	v_cndmask_b32_e64 v10, v209, v15, s[26:27]
	v_cmp_ne_u16_e64 s[58:59], 5, v14
	v_cndmask_b32_e64 v12, v201, v12, s[56:57]
	v_or_b32_e32 v7, v10, v7
	v_cndmask_b32_e64 v10, v209, v17, s[6:7]
	s_mov_b32 s6, 0x5040100
	.loc	1 66 20                         ; fp8_utils_aot.py:66:20
	v_lshlrev_b16_e32 v164, 8, v140
	v_lshlrev_b16_sdwa v166, v211, v140 dst_sel:DWORD dst_unused:UNUSED_PAD src0_sel:DWORD src1_sel:WORD_1
	.loc	1 67 20                         ; fp8_utils_aot.py:67:20
	v_cmp_ne_u16_e64 s[60:61], 6, v14
	v_cmp_ne_u16_e64 s[62:63], 7, v14
	.loc	1 66 20                         ; fp8_utils_aot.py:66:20
	v_lshlrev_b16_sdwa v14, v211, v140 dst_sel:DWORD dst_unused:UNUSED_PAD src0_sel:DWORD src1_sel:BYTE_3
	.loc	1 67 20                         ; fp8_utils_aot.py:67:20
	v_cndmask_b32_e64 v12, v205, v12, s[58:59]
	.loc	1 66 20                         ; fp8_utils_aot.py:66:20
	v_cndmask_b32_e64 v140, v209, v249, s[48:49]
	.loc	1 74 33                         ; fp8_utils_aot.py:74:33
	v_perm_b32 v249, v30, v23, s6
	v_perm_b32 v248, v28, v26, s6
	.loc	1 66 20                         ; fp8_utils_aot.py:66:20
	v_lshlrev_b16_e32 v0, 8, v142
	v_lshlrev_b16_e32 v1, 8, v244
	v_lshlrev_b16_sdwa v4, v211, v142 dst_sel:DWORD dst_unused:UNUSED_PAD src0_sel:DWORD src1_sel:WORD_1
	v_lshlrev_b16_sdwa v251, v211, v142 dst_sel:DWORD dst_unused:UNUSED_PAD src0_sel:DWORD src1_sel:BYTE_3
	.loc	1 67 20                         ; fp8_utils_aot.py:67:20
	v_cndmask_b32_e64 v12, v207, v12, s[60:61]
	v_and_b32_e32 v9, 0xffff8000, v9
	v_and_b32_e32 v11, 0xffff8000, v11
	v_cndmask_b32_e64 v12, v209, v12, s[62:63]
	v_or_b32_e32 v9, v10, v9
	.loc	1 74 33                         ; fp8_utils_aot.py:74:33
	v_and_b32_e32 v1, 0xffff8000, v1
	v_and_b32_e32 v0, 0xffff8000, v0
	;; [unrolled: 1-line block ×4, first 2 shown]
	.loc	1 67 20                         ; fp8_utils_aot.py:67:20
	v_or_b32_e32 v11, v12, v11
	v_and_b32_e32 v8, 0xffff8000, v8
	v_cndmask_b32_e64 v12, v209, v16, s[8:9]
	.loc	1 74 33                         ; fp8_utils_aot.py:74:33
	v_or_b32_e32 v4, v6, v4
	v_or_b32_e32 v5, v5, v10
	v_or_b32_e32 v0, v3, v0
	v_or_b32_e32 v1, v2, v1
	.loc	1 67 20                         ; fp8_utils_aot.py:67:20
	v_or_b32_e32 v8, v12, v8
	.loc	1 74 33                         ; fp8_utils_aot.py:74:33
	v_perm_b32 v16, v1, v0, s6
	v_perm_b32 v17, v5, v4, s6
	v_and_b32_e32 v0, 0xffff8000, v14
	v_and_b32_e32 v1, 0xffff8000, v166
	v_or_b32_e32 v23, v29, v1
	v_or_b32_e32 v26, v13, v0
	v_perm_b32 v251, v9, v8, s6
	v_perm_b32 v250, v7, v11, s6
	v_mfma_f32_32x32x8f16 v[0:15], v[248:249], v[16:17], 0
	v_and_b32_e32 v164, 0xffff8000, v164
	v_and_b32_e32 v17, 0xffff8000, v24
	v_or_b32_e32 v16, v27, v164
	v_or_b32_e32 v17, v25, v17
	v_perm_b32 v16, v17, v16, s6
	v_perm_b32 v17, v26, v23, s6
	.loc	1 66 20                         ; fp8_utils_aot.py:66:20
	v_lshlrev_b16_sdwa v25, v213, v124 dst_sel:DWORD dst_unused:UNUSED_PAD src0_sel:DWORD src1_sel:WORD_1
	v_and_b32_e32 v25, 0x3f80, v25
	v_add_u16_e32 v25, 0x2000, v25
	.loc	1 0 0 is_stmt 0                 ; fp8_utils_aot.py:0
	v_lshrrev_b32_e32 v225, 8, v134
	.loc	1 66 20                         ; fp8_utils_aot.py:66:20
	v_lshlrev_b16_e32 v24, 8, v124
	v_lshlrev_b16_sdwa v23, v211, v124 dst_sel:DWORD dst_unused:UNUSED_PAD src0_sel:DWORD src1_sel:WORD_1
	v_and_b32_e32 v142, 0x7f, v225
	v_cmp_ne_u16_e64 s[36:37], s33, v142
	v_cndmask_b32_e64 v31, v209, v247, s[46:47]
	.loc	1 74 33 is_stmt 1               ; fp8_utils_aot.py:74:33
	v_mfma_f32_32x32x8f16 v[0:15], v[250:251], v[16:17], v[0:15]
	.loc	1 66 20                         ; fp8_utils_aot.py:66:20
	v_lshlrev_b16_sdwa v16, v213, v124 dst_sel:DWORD dst_unused:UNUSED_PAD src0_sel:DWORD src1_sel:BYTE_3
	v_and_b32_e32 v16, 0x3f80, v16
	v_and_b32_sdwa v17, v124, s33 dst_sel:DWORD dst_unused:UNUSED_PAD src0_sel:BYTE_3 src1_sel:DWORD
	v_add_u16_e32 v16, 0x2000, v16
	v_cmp_ne_u16_e64 s[6:7], s33, v17
	v_cndmask_b32_e64 v16, v193, v16, s[6:7]
	v_cmp_ne_u16_e64 s[6:7], 0, v17
	v_cndmask_b32_e64 v16, 0, v16, s[6:7]
	;; [unrolled: 2-line block ×8, first 2 shown]
	v_cmp_ne_u16_e64 s[6:7], 7, v17
	v_and_b32_sdwa v17, v124, s33 dst_sel:DWORD dst_unused:UNUSED_PAD src0_sel:WORD_1 src1_sel:DWORD
	v_cmp_ne_u16_e64 s[8:9], s33, v17
	v_cndmask_b32_e64 v25, v193, v25, s[8:9]
	v_cmp_ne_u16_e64 s[8:9], 0, v17
	v_cndmask_b32_e64 v25, 0, v25, s[8:9]
	;; [unrolled: 2-line block ×8, first 2 shown]
	v_cmp_ne_u16_e64 s[8:9], 7, v17
	v_lshlrev_b16_sdwa v17, v211, v124 dst_sel:DWORD dst_unused:UNUSED_PAD src0_sel:DWORD src1_sel:BYTE_3
	v_lshlrev_b16_e32 v124, 7, v225
	v_and_b32_e32 v124, 0x3f80, v124
	v_lshlrev_b16_sdwa v247, v211, v126 dst_sel:DWORD dst_unused:UNUSED_PAD src0_sel:DWORD src1_sel:WORD_1
	v_lshlrev_b16_sdwa v27, v211, v126 dst_sel:DWORD dst_unused:UNUSED_PAD src0_sel:DWORD src1_sel:BYTE_3
	v_add_u16_e32 v124, 0x2000, v124
	v_cmp_ne_u16_e64 s[38:39], 0, v142
	v_cndmask_b32_e64 v20, v209, v20, s[20:21]
	v_cndmask_b32_e64 v19, v209, v19, s[18:19]
	.loc	1 74 33                         ; fp8_utils_aot.py:74:33
	v_and_b32_e32 v27, 0xffff8000, v27
	v_and_b32_e32 v29, 0xffff8000, v247
	.loc	1 66 20                         ; fp8_utils_aot.py:66:20
	v_cndmask_b32_e64 v124, v193, v124, s[36:37]
	v_cmp_ne_u16_e64 s[40:41], 1, v142
	v_lshlrev_b16_e32 v163, 8, v126
	v_lshlrev_b16_e32 v18, 8, v18
	v_cndmask_b32_e64 v16, v209, v16, s[6:7]
	.loc	1 74 33                         ; fp8_utils_aot.py:74:33
	v_or_b32_e32 v19, v19, v29
	v_or_b32_e32 v20, v20, v27
	s_mov_b32 s6, 0x5040100
	.loc	1 66 20                         ; fp8_utils_aot.py:66:20
	v_cndmask_b32_e64 v124, 0, v124, s[38:39]
	v_cmp_ne_u16_e64 s[42:43], 2, v142
	v_cndmask_b32_e64 v21, v209, v21, s[22:23]
	v_cndmask_b32_e64 v22, v209, v22, s[24:25]
	;; [unrolled: 1-line block ×3, first 2 shown]
	.loc	1 74 33                         ; fp8_utils_aot.py:74:33
	v_and_b32_e32 v26, 0xffff8000, v245
	v_and_b32_e32 v28, 0xffff8000, v163
	v_perm_b32 v245, v20, v19, s6
	v_and_b32_e32 v18, 0xffff8000, v18
	v_and_b32_e32 v19, 0xffff8000, v24
	;; [unrolled: 1-line block ×4, first 2 shown]
	.loc	1 66 20                         ; fp8_utils_aot.py:66:20
	v_cndmask_b32_e64 v124, v195, v124, s[40:41]
	v_cmp_ne_u16_e64 s[44:45], 3, v142
	.loc	1 74 33                         ; fp8_utils_aot.py:74:33
	v_or_b32_e32 v27, v140, v28
	v_or_b32_e32 v26, v31, v26
	;; [unrolled: 1-line block ×6, first 2 shown]
	.loc	1 66 20                         ; fp8_utils_aot.py:66:20
	v_cndmask_b32_e64 v124, v197, v124, s[42:43]
	v_lshlrev_b16_e32 v126, 7, v134
	.loc	1 74 33                         ; fp8_utils_aot.py:74:33
	v_perm_b32 v244, v26, v27, s6
	v_perm_b32 v246, v18, v17, s6
	v_perm_b32 v247, v16, v20, s6
	.loc	1 66 20                         ; fp8_utils_aot.py:66:20
	v_cmp_ne_u16_e64 s[6:7], 4, v142
	v_cndmask_b32_e64 v124, v199, v124, s[44:45]
	v_and_b32_e32 v126, 0x3f80, v126
	v_and_b32_e32 v140, 0x7f, v134
	v_cndmask_b32_e64 v124, v201, v124, s[6:7]
	v_add_u16_e32 v126, 0x2000, v126
	v_cmp_ne_u16_e64 s[6:7], s33, v140
	v_cndmask_b32_e64 v126, v193, v126, s[6:7]
	v_cmp_ne_u16_e64 s[6:7], 0, v140
	v_cndmask_b32_e64 v126, 0, v126, s[6:7]
	;; [unrolled: 2-line block ×6, first 2 shown]
	v_cmp_ne_u16_e64 s[6:7], 5, v140
	v_cmp_ne_u16_e64 s[8:9], 5, v142
	;; [unrolled: 1-line block ×4, first 2 shown]
	v_cndmask_b32_e64 v126, v205, v126, s[6:7]
	v_cmp_ne_u16_e64 s[6:7], 6, v140
	v_and_b32_sdwa v142, v134, s33 dst_sel:DWORD dst_unused:UNUSED_PAD src0_sel:BYTE_3 src1_sel:DWORD
	v_cndmask_b32_e64 v124, v205, v124, s[8:9]
	v_cndmask_b32_e64 v126, v207, v126, s[6:7]
	v_cmp_ne_u16_e64 s[26:27], s33, v142
	v_cmp_ne_u16_e64 s[28:29], 0, v142
	;; [unrolled: 1-line block ×9, first 2 shown]
	v_lshlrev_b16_sdwa v142, v213, v134 dst_sel:DWORD dst_unused:UNUSED_PAD src0_sel:DWORD src1_sel:BYTE_3
	v_cndmask_b32_e64 v124, v207, v124, s[20:21]
	v_cmp_ne_u16_e64 s[20:21], 7, v140
	v_lshlrev_b16_sdwa v140, v213, v134 dst_sel:DWORD dst_unused:UNUSED_PAD src0_sel:DWORD src1_sel:WORD_1
	v_and_b32_e32 v142, 0x3f80, v142
	v_and_b32_e32 v140, 0x3f80, v140
	v_and_b32_sdwa v163, v134, s33 dst_sel:DWORD dst_unused:UNUSED_PAD src0_sel:WORD_1 src1_sel:DWORD
	v_add_u16_e32 v142, 0x2000, v142
	v_add_u16_e32 v140, 0x2000, v140
	v_cndmask_b32_e64 v142, v193, v142, s[26:27]
	v_cmp_ne_u16_e64 s[26:27], s33, v163
	v_cndmask_b32_e64 v140, v193, v140, s[26:27]
	v_cndmask_b32_e64 v142, 0, v142, s[28:29]
	v_cmp_ne_u16_e64 s[26:27], 0, v163
	v_cndmask_b32_e64 v140, 0, v140, s[26:27]
	;; [unrolled: 3-line block ×5, first 2 shown]
	v_cndmask_b32_e64 v142, v201, v142, s[24:25]
	v_cmp_ne_u16_e64 s[24:25], 4, v163
	.loc	1 0 0 is_stmt 0                 ; fp8_utils_aot.py:0
	v_lshrrev_b32_e32 v223, 8, v132
	.loc	1 66 20                         ; fp8_utils_aot.py:66:20
	v_cndmask_b32_e64 v140, v201, v140, s[24:25]
	v_cndmask_b32_e64 v142, v205, v142, s[8:9]
	v_cmp_ne_u16_e64 s[8:9], 5, v163
	v_cndmask_b32_e64 v164, v205, v140, s[8:9]
	v_cndmask_b32_e64 v140, v207, v142, s[6:7]
	v_cmp_ne_u16_e64 s[6:7], 6, v163
	v_cmp_ne_u16_e64 s[28:29], 7, v163
	v_and_b32_e32 v163, 0x7f, v223
	v_cmp_ne_u16_e64 s[62:63], s33, v163
	v_cmp_ne_u16_e64 s[60:61], 0, v163
	;; [unrolled: 1-line block ×9, first 2 shown]
	v_and_b32_e32 v163, 0x7f, v132
	v_cmp_ne_u16_e64 s[46:47], s33, v163
	v_cmp_ne_u16_e64 s[44:45], 0, v163
	;; [unrolled: 1-line block ×9, first 2 shown]
	v_lshlrev_b16_sdwa v163, v211, v138 dst_sel:DWORD dst_unused:UNUSED_PAD src0_sel:DWORD src1_sel:WORD_1
	v_cndmask_b32_e64 v142, v207, v164, s[6:7]
	v_cndmask_b32_e64 v164, v209, v239, s[12:13]
	.loc	1 74 33 is_stmt 1               ; fp8_utils_aot.py:74:33
	v_and_b32_e32 v163, 0xffff8000, v163
	v_or_b32_e32 v163, v164, v163
	.loc	1 66 20                         ; fp8_utils_aot.py:66:20
	v_lshlrev_b16_sdwa v164, v211, v138 dst_sel:DWORD dst_unused:UNUSED_PAD src0_sel:DWORD src1_sel:BYTE_3
	v_lshlrev_b16_e32 v138, 8, v138
	v_lshlrev_b16_e32 v145, 8, v145
	v_cndmask_b32_e64 v148, v209, v148, s[0:1]
	.loc	1 74 33                         ; fp8_utils_aot.py:74:33
	v_and_b32_e32 v138, 0xffff8000, v138
	.loc	1 66 20                         ; fp8_utils_aot.py:66:20
	v_cndmask_b32_e32 v147, v209, v147, vcc
	.loc	1 74 33                         ; fp8_utils_aot.py:74:33
	v_and_b32_e32 v145, 0xffff8000, v145
	.loc	1 0 0 is_stmt 0                 ; fp8_utils_aot.py:0
	v_lshrrev_b32_e32 v146, 8, v122
	s_mov_b32 s74, 0x5040100
	.loc	1 74 33                         ; fp8_utils_aot.py:74:33
	v_or_b32_e32 v138, v148, v138
	v_or_b32_e32 v145, v147, v145
	v_perm_b32 v148, v145, v138, s74
	.loc	1 66 20 is_stmt 1               ; fp8_utils_aot.py:66:20
	v_lshlrev_b16_e32 v138, 7, v146
	v_and_b32_e32 v138, 0x3f80, v138
	v_and_b32_e32 v145, 0x7f, v146
	v_add_u16_e32 v138, 0x2000, v138
	v_cmp_ne_u16_e32 vcc, s33, v145
	v_cndmask_b32_e32 v138, v193, v138, vcc
	v_cmp_ne_u16_e32 vcc, 0, v145
	v_cndmask_b32_e32 v138, 0, v138, vcc
	;; [unrolled: 2-line block ×6, first 2 shown]
	v_cmp_ne_u16_e32 vcc, 5, v145
	v_lshlrev_b16_e32 v147, 7, v122
	v_cndmask_b32_e32 v138, v205, v138, vcc
	v_cmp_ne_u16_e32 vcc, 6, v145
	v_and_b32_e32 v147, 0x3f80, v147
	v_cndmask_b32_e32 v138, v207, v138, vcc
	v_cmp_ne_u16_e32 vcc, 7, v145
	v_and_b32_e32 v145, 0x7f, v122
	v_add_u16_e32 v147, 0x2000, v147
	v_cmp_ne_u16_e64 s[0:1], s33, v145
	v_cndmask_b32_e64 v147, v193, v147, s[0:1]
	v_cmp_ne_u16_e64 s[0:1], 0, v145
	v_cndmask_b32_e64 v147, 0, v147, s[0:1]
	;; [unrolled: 2-line block ×7, first 2 shown]
	.loc	1 74 33                         ; fp8_utils_aot.py:74:33
	v_and_b32_e32 v164, 0xffff8000, v164
	.loc	1 66 20                         ; fp8_utils_aot.py:66:20
	v_cndmask_b32_e64 v147, v205, v147, s[0:1]
	v_cmp_ne_u16_e64 s[0:1], 6, v145
	.loc	1 74 33                         ; fp8_utils_aot.py:74:33
	v_or_b32_e32 v149, v149, v164
	.loc	1 66 20                         ; fp8_utils_aot.py:66:20
	v_cndmask_b32_e64 v147, v207, v147, s[0:1]
	v_cmp_ne_u16_e64 s[0:1], 7, v145
	v_lshlrev_b16_sdwa v145, v211, v136 dst_sel:DWORD dst_unused:UNUSED_PAD src0_sel:DWORD src1_sel:WORD_1
	.loc	1 74 33                         ; fp8_utils_aot.py:74:33
	v_perm_b32 v149, v149, v163, s74
	.loc	1 66 20                         ; fp8_utils_aot.py:66:20
	v_cndmask_b32_e64 v163, v209, v243, s[16:17]
	.loc	1 74 33                         ; fp8_utils_aot.py:74:33
	v_and_b32_e32 v145, 0xffff8000, v145
	v_or_b32_e32 v145, v163, v145
	.loc	1 66 20                         ; fp8_utils_aot.py:66:20
	v_lshlrev_b16_sdwa v163, v211, v136 dst_sel:DWORD dst_unused:UNUSED_PAD src0_sel:DWORD src1_sel:BYTE_3
	v_cndmask_b32_e64 v164, v209, v241, s[14:15]
	.loc	1 74 33                         ; fp8_utils_aot.py:74:33
	v_and_b32_e32 v163, 0xffff8000, v163
	.loc	1 66 20                         ; fp8_utils_aot.py:66:20
	v_lshlrev_b16_e32 v136, 8, v136
	.loc	1 74 33                         ; fp8_utils_aot.py:74:33
	v_or_b32_e32 v163, v164, v163
	.loc	1 66 20                         ; fp8_utils_aot.py:66:20
	v_cndmask_b32_e64 v164, v209, v237, s[4:5]
	.loc	1 74 33                         ; fp8_utils_aot.py:74:33
	v_and_b32_e32 v136, 0xffff8000, v136
	.loc	1 66 20                         ; fp8_utils_aot.py:66:20
	v_lshlrev_b16_e32 v144, 8, v144
	.loc	1 74 33                         ; fp8_utils_aot.py:74:33
	v_or_b32_e32 v136, v164, v136
	.loc	1 66 20                         ; fp8_utils_aot.py:66:20
	v_cndmask_b32_e64 v164, v209, v235, s[2:3]
	.loc	1 74 33                         ; fp8_utils_aot.py:74:33
	v_and_b32_e32 v144, 0xffff8000, v144
	v_or_b32_e32 v144, v164, v144
	v_perm_b32 v144, v144, v136, s74
	.loc	1 66 20                         ; fp8_utils_aot.py:66:20
	v_lshlrev_b16_sdwa v136, v213, v122 dst_sel:DWORD dst_unused:UNUSED_PAD src0_sel:DWORD src1_sel:BYTE_3
	.loc	1 74 33                         ; fp8_utils_aot.py:74:33
	v_perm_b32 v145, v163, v145, s74
	.loc	1 66 20                         ; fp8_utils_aot.py:66:20
	v_and_b32_e32 v136, 0x3f80, v136
	v_and_b32_sdwa v163, v122, s33 dst_sel:DWORD dst_unused:UNUSED_PAD src0_sel:BYTE_3 src1_sel:DWORD
	v_add_u16_e32 v136, 0x2000, v136
	v_cmp_ne_u16_e64 s[2:3], s33, v163
	v_cndmask_b32_e64 v136, v193, v136, s[2:3]
	v_cmp_ne_u16_e64 s[2:3], 0, v163
	v_cndmask_b32_e64 v136, 0, v136, s[2:3]
	v_cmp_ne_u16_e64 s[2:3], 1, v163
	v_cndmask_b32_e64 v136, v195, v136, s[2:3]
	v_cmp_ne_u16_e64 s[2:3], 2, v163
	v_cndmask_b32_e64 v136, v197, v136, s[2:3]
	v_cmp_ne_u16_e64 s[2:3], 3, v163
	v_cndmask_b32_e64 v136, v199, v136, s[2:3]
	v_cmp_ne_u16_e64 s[2:3], 4, v163
	v_cndmask_b32_e64 v136, v201, v136, s[2:3]
	v_cmp_ne_u16_e64 s[2:3], 5, v163
	v_lshlrev_b16_sdwa v164, v213, v122 dst_sel:DWORD dst_unused:UNUSED_PAD src0_sel:DWORD src1_sel:WORD_1
	v_cndmask_b32_e64 v136, v205, v136, s[2:3]
	v_cmp_ne_u16_e64 s[2:3], 6, v163
	v_and_b32_e32 v164, 0x3f80, v164
	v_cndmask_b32_e64 v136, v207, v136, s[2:3]
	v_cmp_ne_u16_e64 s[2:3], 7, v163
	v_and_b32_sdwa v163, v122, s33 dst_sel:DWORD dst_unused:UNUSED_PAD src0_sel:WORD_1 src1_sel:DWORD
	v_add_u16_e32 v164, 0x2000, v164
	v_cmp_ne_u16_e64 s[4:5], s33, v163
	v_cndmask_b32_e64 v164, v193, v164, s[4:5]
	v_cmp_ne_u16_e64 s[4:5], 0, v163
	v_cndmask_b32_e64 v164, 0, v164, s[4:5]
	;; [unrolled: 2-line block ×7, first 2 shown]
	v_cmp_ne_u16_e64 s[4:5], 6, v163
	.loc	1 67 20                         ; fp8_utils_aot.py:67:20
	ds_read_u8 v231, v162 offset:2048
	ds_read_u8 v229, v162 offset:2176
	ds_read_u8 v155, v162 offset:2304
	ds_read_u8 v154, v162 offset:2432
	.loc	1 66 20                         ; fp8_utils_aot.py:66:20
	v_cndmask_b32_e64 v164, v207, v164, s[4:5]
	v_cmp_ne_u16_e64 s[4:5], 7, v163
	v_lshlrev_b16_sdwa v163, v211, v122 dst_sel:DWORD dst_unused:UNUSED_PAD src0_sel:DWORD src1_sel:WORD_1
	v_cndmask_b32_e64 v164, v209, v164, s[4:5]
	.loc	1 74 33                         ; fp8_utils_aot.py:74:33
	v_and_b32_e32 v163, 0xffff8000, v163
	v_or_b32_e32 v163, v164, v163
	.loc	1 66 20                         ; fp8_utils_aot.py:66:20
	v_lshlrev_b16_sdwa v164, v211, v122 dst_sel:DWORD dst_unused:UNUSED_PAD src0_sel:DWORD src1_sel:BYTE_3
	v_lshlrev_b16_e32 v122, 8, v122
	v_lshlrev_b16_e32 v146, 8, v146
	v_cndmask_b32_e64 v147, v209, v147, s[0:1]
	.loc	1 74 33                         ; fp8_utils_aot.py:74:33
	v_and_b32_e32 v122, 0xffff8000, v122
	.loc	1 66 20                         ; fp8_utils_aot.py:66:20
	v_cndmask_b32_e32 v138, v209, v138, vcc
	.loc	1 74 33                         ; fp8_utils_aot.py:74:33
	v_and_b32_e32 v146, 0xffff8000, v146
	v_or_b32_e32 v122, v147, v122
	v_or_b32_e32 v138, v138, v146
	v_perm_b32 v146, v138, v122, s74
	.loc	1 67 20                         ; fp8_utils_aot.py:67:20
	s_waitcnt lgkmcnt(0)
	v_and_b32_e32 v122, 0x7f, v154
	.loc	1 66 20                         ; fp8_utils_aot.py:66:20
	v_cndmask_b32_e64 v136, v209, v136, s[2:3]
	.loc	1 67 20                         ; fp8_utils_aot.py:67:20
	v_cmp_ne_u16_e32 vcc, s33, v122
	v_cmp_ne_u16_e64 s[0:1], 0, v122
	v_cmp_ne_u16_e64 s[2:3], 1, v122
	;; [unrolled: 1-line block ×8, first 2 shown]
	v_lshlrev_b16_e32 v122, 7, v155
	v_and_b32_e32 v122, 0x3f80, v122
	v_and_b32_e32 v138, 0x7f, v155
	v_add_u16_e32 v122, 0x2000, v122
	v_cmp_ne_u16_e64 s[16:17], s33, v138
	v_cndmask_b32_e64 v122, v193, v122, s[16:17]
	v_cmp_ne_u16_e64 s[16:17], 0, v138
	v_cndmask_b32_e64 v122, 0, v122, s[16:17]
	;; [unrolled: 2-line block ×6, first 2 shown]
	v_cmp_ne_u16_e64 s[16:17], 5, v138
	.loc	1 74 33                         ; fp8_utils_aot.py:74:33
	v_and_b32_e32 v164, 0xffff8000, v164
	.loc	1 67 20                         ; fp8_utils_aot.py:67:20
	v_cndmask_b32_e64 v122, v205, v122, s[16:17]
	v_cmp_ne_u16_e64 s[16:17], 6, v138
	.loc	1 74 33                         ; fp8_utils_aot.py:74:33
	v_or_b32_e32 v136, v136, v164
	.loc	1 67 20                         ; fp8_utils_aot.py:67:20
	v_cndmask_b32_e64 v164, v207, v122, s[16:17]
	v_lshlrev_b16_e32 v122, 7, v229
	.loc	1 74 33                         ; fp8_utils_aot.py:74:33
	v_perm_b32 v147, v136, v163, s74
	.loc	1 67 20                         ; fp8_utils_aot.py:67:20
	v_and_b32_e32 v122, 0x3f80, v122
	v_and_b32_e32 v136, 0x7f, v229
	v_add_u16_e32 v122, 0x2000, v122
	v_cmp_ne_u16_e64 s[16:17], s33, v136
	v_cndmask_b32_e64 v122, v193, v122, s[16:17]
	v_cmp_ne_u16_e64 s[16:17], 0, v136
	v_cndmask_b32_e64 v122, 0, v122, s[16:17]
	;; [unrolled: 2-line block ×8, first 2 shown]
	v_lshlrev_b16_e32 v122, 7, v231
	v_and_b32_e32 v122, 0x3f80, v122
	v_and_b32_e32 v166, 0x7f, v231
	v_add_u16_e32 v122, 0x2000, v122
	v_cmp_ne_u16_e64 s[16:17], s33, v166
	v_cndmask_b32_e64 v122, v193, v122, s[16:17]
	v_cmp_ne_u16_e64 s[16:17], 0, v166
	v_cndmask_b32_e64 v122, 0, v122, s[16:17]
	;; [unrolled: 2-line block ×3, first 2 shown]
	v_cmp_ne_u16_e64 s[16:17], 2, v166
	.loc	1 74 33                         ; fp8_utils_aot.py:74:33
	v_mfma_f32_32x32x8f16 v[16:31], v[248:249], v[244:245], 0
	.loc	1 67 20                         ; fp8_utils_aot.py:67:20
	v_cndmask_b32_e64 v122, v197, v122, s[16:17]
	v_cmp_ne_u16_e64 s[16:17], 3, v166
	v_cndmask_b32_e64 v122, v199, v122, s[16:17]
	v_cmp_ne_u16_e64 s[16:17], 4, v166
	;; [unrolled: 2-line block ×7, first 2 shown]
	v_lshlrev_b16_e32 v155, 8, v155
	v_and_b32_e32 v155, 0xffff8000, v155
	v_cndmask_b32_e64 v164, v209, v164, s[16:17]
	v_or_b32_e32 v155, v164, v155
	v_lshlrev_b16_e32 v164, 8, v154
	v_lshlrev_b16_e32 v154, 7, v154
	v_and_b32_e32 v154, 0x3f80, v154
	v_add_u16_e32 v154, 0x2000, v154
	v_cndmask_b32_e32 v154, v193, v154, vcc
	v_cndmask_b32_e64 v154, 0, v154, s[0:1]
	v_cndmask_b32_e64 v154, v195, v154, s[2:3]
	v_cndmask_b32_e64 v154, v197, v154, s[4:5]
	v_cndmask_b32_e64 v154, v199, v154, s[6:7]
	.loc	1 74 33                         ; fp8_utils_aot.py:74:33
	v_mfma_f32_32x32x8f16 v[16:31], v[250:251], v[246:247], v[16:31]
	.loc	1 67 20                         ; fp8_utils_aot.py:67:20
	v_cndmask_b32_e64 v154, v201, v154, s[8:9]
	v_cndmask_b32_e64 v154, v205, v154, s[10:11]
	v_lshlrev_b16_e32 v163, 8, v231
	v_lshlrev_b16_e32 v170, 8, v229
	v_cndmask_b32_e64 v154, v207, v154, s[12:13]
	v_and_b32_e32 v163, 0xffff8000, v163
	v_and_b32_e32 v170, 0xffff8000, v170
	v_and_b32_e32 v164, 0xffff8000, v164
	v_cndmask_b32_e64 v154, v209, v154, s[14:15]
	v_or_b32_e32 v166, v166, v163
	v_or_b32_e32 v168, v168, v170
	;; [unrolled: 1-line block ×3, first 2 shown]
	.loc	1 74 33                         ; fp8_utils_aot.py:74:33
	v_perm_b32 v155, v154, v155, s74
	v_perm_b32 v154, v168, v166, s74
	.loc	1 66 20                         ; fp8_utils_aot.py:66:20
	v_lshlrev_b16_sdwa v166, v213, v132 dst_sel:DWORD dst_unused:UNUSED_PAD src0_sel:DWORD src1_sel:WORD_1
	v_and_b32_e32 v168, 0x3f80, v166
	v_and_b32_sdwa v166, v132, s33 dst_sel:DWORD dst_unused:UNUSED_PAD src0_sel:BYTE_3 src1_sel:DWORD
	v_lshlrev_b16_e32 v170, 7, v132
	v_cmp_ne_u16_e64 s[0:1], s33, v166
	v_cmp_ne_u16_e64 s[2:3], 0, v166
	;; [unrolled: 1-line block ×8, first 2 shown]
	v_cmp_ne_u16_e32 vcc, 7, v166
	v_lshlrev_b16_sdwa v166, v213, v132 dst_sel:DWORD dst_unused:UNUSED_PAD src0_sel:DWORD src1_sel:BYTE_3
	v_and_b32_e32 v170, 0x3f80, v170
	v_and_b32_e32 v166, 0x3f80, v166
	v_add_u16_e32 v170, 0x2000, v170
	v_add_u16_e32 v166, 0x2000, v166
	v_cndmask_b32_e64 v170, v193, v170, s[46:47]
	v_cndmask_b32_e64 v166, v193, v166, s[0:1]
	;; [unrolled: 1-line block ×10, first 2 shown]
	.loc	1 0 0 is_stmt 0                 ; fp8_utils_aot.py:0
	v_lshrrev_b32_e32 v227, 8, v120
	.loc	1 66 20                         ; fp8_utils_aot.py:66:20
	v_cndmask_b32_e64 v170, v201, v170, s[36:37]
	v_cndmask_b32_e64 v166, v201, v166, s[10:11]
	;; [unrolled: 1-line block ×4, first 2 shown]
	.loc	1 74 33 is_stmt 1               ; fp8_utils_aot.py:74:33
	v_mfma_f32_32x32x8f16 v[16:31], v[154:155], v[146:147], v[16:31]
	.loc	1 66 20                         ; fp8_utils_aot.py:66:20
	v_lshlrev_b16_e32 v146, 7, v120
	v_and_b32_e32 v147, 0x7f, v227
	v_cndmask_b32_e64 v170, v207, v170, s[30:31]
	v_cndmask_b32_e64 v166, v207, v166, s[14:15]
	v_and_b32_e32 v146, 0x3f80, v146
	v_cmp_ne_u16_e64 s[30:31], s33, v147
	v_cmp_ne_u16_e64 s[16:17], 0, v147
	;; [unrolled: 1-line block ×9, first 2 shown]
	v_and_b32_e32 v147, 0x7f, v120
	.loc	1 74 33                         ; fp8_utils_aot.py:74:33
	v_mfma_f32_32x32x8f16 v[0:15], v[154:155], v[148:149], v[0:15]
	.loc	1 66 20                         ; fp8_utils_aot.py:66:20
	v_lshlrev_b16_sdwa v154, v213, v120 dst_sel:DWORD dst_unused:UNUSED_PAD src0_sel:DWORD src1_sel:BYTE_3
	v_add_u16_e32 v146, 0x2000, v146
	v_cmp_ne_u16_e64 s[34:35], s33, v147
	v_and_b32_e32 v154, 0x3f80, v154
	v_and_b32_sdwa v155, v120, s33 dst_sel:DWORD dst_unused:UNUSED_PAD src0_sel:BYTE_3 src1_sel:DWORD
	v_cndmask_b32_e64 v146, v193, v146, s[34:35]
	v_cmp_ne_u16_e64 s[34:35], 0, v147
	v_add_u16_e32 v154, 0x2000, v154
	v_cmp_ne_u16_e64 s[36:37], s33, v155
	v_cndmask_b32_e64 v146, 0, v146, s[34:35]
	v_cmp_ne_u16_e64 s[34:35], 1, v147
	v_cndmask_b32_e64 v154, v193, v154, s[36:37]
	;; [unrolled: 2-line block ×13, first 2 shown]
	v_cmp_ne_u16_e64 s[34:35], 7, v147
	v_lshlrev_b16_sdwa v147, v213, v120 dst_sel:DWORD dst_unused:UNUSED_PAD src0_sel:DWORD src1_sel:WORD_1
	v_cndmask_b32_e64 v154, v205, v154, s[36:37]
	v_cmp_ne_u16_e64 s[36:37], 6, v155
	v_and_b32_e32 v147, 0x3f80, v147
	v_cndmask_b32_e64 v154, v207, v154, s[36:37]
	v_cmp_ne_u16_e64 s[36:37], 7, v155
	v_and_b32_sdwa v155, v120, s33 dst_sel:DWORD dst_unused:UNUSED_PAD src0_sel:WORD_1 src1_sel:DWORD
	v_add_u16_e32 v147, 0x2000, v147
	v_cmp_ne_u16_e64 s[38:39], s33, v155
	v_cndmask_b32_e64 v147, v193, v147, s[38:39]
	v_cmp_ne_u16_e64 s[38:39], 0, v155
	v_cndmask_b32_e64 v147, 0, v147, s[38:39]
	;; [unrolled: 2-line block ×8, first 2 shown]
	v_cmp_ne_u16_e64 s[38:39], 7, v155
	v_lshlrev_b16_sdwa v155, v211, v120 dst_sel:DWORD dst_unused:UNUSED_PAD src0_sel:DWORD src1_sel:WORD_1
	v_cndmask_b32_e64 v147, v209, v147, s[38:39]
	.loc	1 74 33                         ; fp8_utils_aot.py:74:33
	v_and_b32_e32 v155, 0xffff8000, v155
	v_or_b32_e32 v147, v147, v155
	.loc	1 66 20                         ; fp8_utils_aot.py:66:20
	v_lshlrev_b16_sdwa v155, v211, v120 dst_sel:DWORD dst_unused:UNUSED_PAD src0_sel:DWORD src1_sel:BYTE_3
	v_lshlrev_b16_e32 v120, 8, v120
	v_cndmask_b32_e64 v146, v209, v146, s[34:35]
	.loc	1 74 33                         ; fp8_utils_aot.py:74:33
	v_and_b32_e32 v120, 0xffff8000, v120
	v_or_b32_e32 v120, v146, v120
	.loc	1 66 20                         ; fp8_utils_aot.py:66:20
	v_lshlrev_b16_e32 v146, 7, v227
	v_and_b32_e32 v146, 0x3f80, v146
	v_add_u16_e32 v146, 0x2000, v146
	v_cndmask_b32_e64 v146, v193, v146, s[30:31]
	v_cndmask_b32_e64 v146, 0, v146, s[16:17]
	;; [unrolled: 1-line block ×4, first 2 shown]
	.loc	1 67 20                         ; fp8_utils_aot.py:67:20
	ds_read_u8 v122, v162 offset:3072
	ds_read_u8 v136, v162 offset:3200
	;; [unrolled: 1-line block ×4, first 2 shown]
	.loc	1 66 20                         ; fp8_utils_aot.py:66:20
	v_cndmask_b32_e64 v146, v199, v146, s[10:11]
	v_cndmask_b32_e64 v146, v201, v146, s[8:9]
	;; [unrolled: 1-line block ×3, first 2 shown]
	.loc	1 74 33                         ; fp8_utils_aot.py:74:33
	v_and_b32_e32 v155, 0xffff8000, v155
	.loc	1 66 20                         ; fp8_utils_aot.py:66:20
	v_cndmask_b32_e64 v146, v205, v146, s[6:7]
	.loc	1 74 33                         ; fp8_utils_aot.py:74:33
	v_or_b32_e32 v154, v154, v155
	.loc	1 66 20                         ; fp8_utils_aot.py:66:20
	v_cndmask_b32_e64 v146, v207, v146, s[4:5]
	v_lshlrev_b16_e32 v155, 8, v227
	v_cndmask_b32_e64 v146, v209, v146, s[2:3]
	.loc	1 74 33                         ; fp8_utils_aot.py:74:33
	v_and_b32_e32 v155, 0xffff8000, v155
	v_or_b32_e32 v146, v146, v155
	v_perm_b32 v147, v154, v147, s74
	.loc	1 67 20                         ; fp8_utils_aot.py:67:20
	s_waitcnt lgkmcnt(0)
	v_lshlrev_b16_e32 v154, 7, v163
	.loc	1 74 33                         ; fp8_utils_aot.py:74:33
	v_perm_b32 v146, v146, v120, s74
	v_lshlrev_b16_e32 v120, 8, v163
	.loc	1 67 20                         ; fp8_utils_aot.py:67:20
	v_and_b32_e32 v154, 0x3f80, v154
	v_and_b32_e32 v163, 0x7f, v163
	v_add_u16_e32 v154, 0x2000, v154
	v_cmp_ne_u16_e64 s[2:3], s33, v163
	v_cndmask_b32_e64 v154, v193, v154, s[2:3]
	v_cmp_ne_u16_e64 s[2:3], 0, v163
	v_cndmask_b32_e64 v154, 0, v154, s[2:3]
	;; [unrolled: 2-line block ×8, first 2 shown]
	v_cmp_ne_u16_e64 s[2:3], 7, v163
	v_lshlrev_b16_e32 v163, 7, v138
	v_lshlrev_b16_e32 v155, 8, v138
	v_and_b32_e32 v163, 0x3f80, v163
	v_and_b32_e32 v138, 0x7f, v138
	v_add_u16_e32 v163, 0x2000, v163
	v_cmp_ne_u16_e64 s[4:5], s33, v138
	v_cndmask_b32_e64 v163, v193, v163, s[4:5]
	v_cmp_ne_u16_e64 s[4:5], 0, v138
	v_cndmask_b32_e64 v163, 0, v163, s[4:5]
	;; [unrolled: 2-line block ×8, first 2 shown]
	v_cmp_ne_u16_e64 s[4:5], 7, v138
	v_lshlrev_b16_e32 v138, 7, v136
	.loc	1 66 20                         ; fp8_utils_aot.py:66:20
	v_add_u16_e32 v148, 0x2000, v168
	v_lshlrev_b16_e32 v168, 8, v136
	.loc	1 67 20                         ; fp8_utils_aot.py:67:20
	v_and_b32_e32 v138, 0x3f80, v138
	v_and_b32_e32 v136, 0x7f, v136
	.loc	1 66 20                         ; fp8_utils_aot.py:66:20
	v_and_b32_sdwa v149, v132, s33 dst_sel:DWORD dst_unused:UNUSED_PAD src0_sel:WORD_1 src1_sel:DWORD
	.loc	1 67 20                         ; fp8_utils_aot.py:67:20
	v_add_u16_e32 v138, 0x2000, v138
	v_cmp_ne_u16_e64 s[6:7], s33, v136
	.loc	1 66 20                         ; fp8_utils_aot.py:66:20
	v_cmp_ne_u16_e64 s[0:1], s33, v149
	.loc	1 67 20                         ; fp8_utils_aot.py:67:20
	v_cndmask_b32_e64 v138, v193, v138, s[6:7]
	v_cmp_ne_u16_e64 s[6:7], 0, v136
	.loc	1 66 20                         ; fp8_utils_aot.py:66:20
	v_cndmask_b32_e64 v148, v193, v148, s[0:1]
	;; [unrolled: 3-line block ×15, first 2 shown]
	v_cmp_ne_u16_e64 s[6:7], 7, v136
	v_lshlrev_b16_e32 v136, 7, v122
	.loc	1 66 20                         ; fp8_utils_aot.py:66:20
	v_cndmask_b32_e64 v148, v207, v148, s[0:1]
	v_cmp_ne_u16_e64 s[0:1], 7, v149
	v_lshlrev_b16_e32 v149, 8, v122
	.loc	1 67 20                         ; fp8_utils_aot.py:67:20
	v_and_b32_e32 v136, 0x3f80, v136
	v_and_b32_e32 v122, 0x7f, v122
	v_add_u16_e32 v136, 0x2000, v136
	v_cmp_ne_u16_e64 s[8:9], s33, v122
	v_cndmask_b32_e64 v136, v193, v136, s[8:9]
	v_cmp_ne_u16_e64 s[8:9], 0, v122
	v_cndmask_b32_e64 v136, 0, v136, s[8:9]
	;; [unrolled: 2-line block ×8, first 2 shown]
	v_cmp_ne_u16_e64 s[8:9], 7, v122
	v_and_b32_e32 v149, 0xffff8000, v149
	v_cndmask_b32_e64 v136, v209, v136, s[8:9]
	v_and_b32_e32 v168, 0xffff8000, v168
	v_cndmask_b32_e64 v138, v209, v138, s[6:7]
	;; [unrolled: 2-line block ×4, first 2 shown]
	v_or_b32_e32 v136, v136, v149
	v_or_b32_e32 v138, v138, v168
	;; [unrolled: 1-line block ×4, first 2 shown]
	.loc	1 74 33                         ; fp8_utils_aot.py:74:33
	v_perm_b32 v155, v120, v155, s74
	v_perm_b32 v154, v138, v136, s74
	.loc	1 0 0 is_stmt 0                 ; fp8_utils_aot.py:0
	v_lshrrev_b32_e32 v219, 8, v130
	.loc	1 66 20 is_stmt 1               ; fp8_utils_aot.py:66:20
	v_lshlrev_b16_e32 v138, 7, v130
	.loc	1 74 33                         ; fp8_utils_aot.py:74:33
	v_mfma_f32_32x32x8f16 v[0:15], v[154:155], v[144:145], v[0:15]
	.loc	1 66 20                         ; fp8_utils_aot.py:66:20
	v_lshlrev_b16_e32 v144, 7, v219
	v_and_b32_e32 v144, 0x3f80, v144
	v_and_b32_e32 v145, 0x7f, v219
	v_add_u16_e32 v144, 0x2000, v144
	v_cmp_ne_u16_e64 s[2:3], s33, v145
	v_cndmask_b32_e64 v144, v193, v144, s[2:3]
	v_cmp_ne_u16_e64 s[2:3], 0, v145
	v_cndmask_b32_e64 v144, 0, v144, s[2:3]
	;; [unrolled: 2-line block ×7, first 2 shown]
	v_cmp_ne_u16_e64 s[2:3], 6, v145
	v_and_b32_e32 v138, 0x3f80, v138
	v_cndmask_b32_e64 v172, v207, v144, s[2:3]
	v_and_b32_e32 v144, 0x7f, v130
	v_add_u16_e32 v138, 0x2000, v138
	v_cmp_ne_u16_e64 s[2:3], s33, v144
	v_cndmask_b32_e64 v138, v193, v138, s[2:3]
	v_cmp_ne_u16_e64 s[2:3], 0, v144
	v_cndmask_b32_e64 v138, 0, v138, s[2:3]
	;; [unrolled: 2-line block ×5, first 2 shown]
	v_cmp_ne_u16_e64 s[2:3], 4, v144
	v_cmp_ne_u16_e64 s[68:69], 7, v145
	v_cndmask_b32_e64 v138, v201, v138, s[2:3]
	v_cmp_ne_u16_e64 s[2:3], 5, v144
	v_lshlrev_b16_sdwa v145, v213, v130 dst_sel:DWORD dst_unused:UNUSED_PAD src0_sel:DWORD src1_sel:BYTE_3
	v_cndmask_b32_e64 v138, v205, v138, s[2:3]
	v_cmp_ne_u16_e64 s[2:3], 6, v144
	.loc	1 74 33                         ; fp8_utils_aot.py:74:33
	v_mfma_f32_32x32x8f16 v[16:31], v[154:155], v[146:147], v[16:31]
	.loc	1 66 20                         ; fp8_utils_aot.py:66:20
	v_and_b32_e32 v145, 0x3f80, v145
	v_and_b32_sdwa v146, v130, s33 dst_sel:DWORD dst_unused:UNUSED_PAD src0_sel:BYTE_3 src1_sel:DWORD
	v_cndmask_b32_e64 v138, v207, v138, s[2:3]
	v_add_u16_e32 v145, 0x2000, v145
	v_cmp_ne_u16_e64 s[2:3], s33, v146
	v_cndmask_b32_e64 v145, v193, v145, s[2:3]
	v_cmp_ne_u16_e64 s[2:3], 0, v146
	v_cndmask_b32_e64 v145, 0, v145, s[2:3]
	;; [unrolled: 2-line block ×6, first 2 shown]
	v_cmp_ne_u16_e64 s[2:3], 5, v146
	v_cmp_ne_u16_e64 s[36:37], 7, v144
	v_lshlrev_b16_sdwa v144, v213, v130 dst_sel:DWORD dst_unused:UNUSED_PAD src0_sel:DWORD src1_sel:WORD_1
	v_cndmask_b32_e64 v145, v205, v145, s[2:3]
	v_cmp_ne_u16_e64 s[2:3], 6, v146
	v_and_b32_e32 v144, 0x3f80, v144
	v_cndmask_b32_e64 v154, v207, v145, s[2:3]
	v_and_b32_sdwa v145, v130, s33 dst_sel:DWORD dst_unused:UNUSED_PAD src0_sel:WORD_1 src1_sel:DWORD
	v_add_u16_e32 v144, 0x2000, v144
	v_cmp_ne_u16_e64 s[2:3], s33, v145
	v_cndmask_b32_e64 v144, v193, v144, s[2:3]
	v_cmp_ne_u16_e64 s[2:3], 0, v145
	v_cndmask_b32_e64 v144, 0, v144, s[2:3]
	;; [unrolled: 2-line block ×3, first 2 shown]
	v_cmp_ne_u16_e64 s[2:3], 2, v145
	v_lshlrev_b16_e32 v164, 7, v223
	v_cndmask_b32_e64 v144, v197, v144, s[2:3]
	v_cmp_ne_u16_e64 s[2:3], 3, v145
	v_and_b32_e32 v164, 0x3f80, v164
	v_cndmask_b32_e64 v144, v199, v144, s[2:3]
	v_cmp_ne_u16_e64 s[2:3], 4, v145
	.loc	1 0 0 is_stmt 0                 ; fp8_utils_aot.py:0
	v_lshrrev_b32_e32 v217, 8, v128
	.loc	1 66 20                         ; fp8_utils_aot.py:66:20
	v_add_u16_e32 v164, 0x2000, v164
	v_cndmask_b32_e64 v144, v201, v144, s[2:3]
	v_cmp_ne_u16_e64 s[2:3], 5, v145
	v_cndmask_b32_e64 v164, v193, v164, s[62:63]
	v_cmp_ne_u16_e64 s[16:17], 7, v146
	;; [unrolled: 2-line block ×3, first 2 shown]
	v_and_b32_e32 v146, 0x7f, v217
	v_cndmask_b32_e64 v164, 0, v164, s[60:61]
	v_cndmask_b32_e64 v155, v207, v144, s[2:3]
	v_cmp_ne_u16_e64 s[2:3], s33, v146
	v_cmp_ne_u16_e64 s[4:5], 0, v146
	v_cmp_ne_u16_e64 s[6:7], 1, v146
	v_cmp_ne_u16_e64 s[8:9], 2, v146
	v_cmp_ne_u16_e64 s[10:11], 3, v146
	v_cmp_ne_u16_e64 s[12:13], 4, v146
	v_cmp_ne_u16_e64 s[14:15], 5, v146
	v_cmp_ne_u16_e64 s[60:61], 6, v146
	v_cmp_ne_u16_e64 s[70:71], 7, v146
	v_lshlrev_b16_e32 v146, 7, v217
	v_lshlrev_b16_e32 v144, 7, v128
	v_and_b32_e32 v146, 0x3f80, v146
	v_cmp_ne_u16_e64 s[40:41], 7, v145
	v_and_b32_e32 v144, 0x3f80, v144
	v_and_b32_e32 v145, 0x7f, v128
	v_add_u16_e32 v146, 0x2000, v146
	v_add_u16_e32 v144, 0x2000, v144
	v_cndmask_b32_e64 v146, v193, v146, s[2:3]
	v_cmp_ne_u16_e64 s[2:3], s33, v145
	v_cndmask_b32_e64 v144, v193, v144, s[2:3]
	v_cmp_ne_u16_e64 s[2:3], 0, v145
	;; [unrolled: 2-line block ×8, first 2 shown]
	v_cndmask_b32_e64 v144, v205, v144, s[2:3]
	v_cndmask_b32_e64 v164, v195, v164, s[58:59]
	;; [unrolled: 1-line block ×4, first 2 shown]
	v_lshlrev_b16_e32 v144, 8, v225
	v_cndmask_b32_e64 v164, v197, v164, s[56:57]
	v_cndmask_b32_e64 v146, v197, v146, s[8:9]
	;; [unrolled: 1-line block ×3, first 2 shown]
	.loc	1 74 33 is_stmt 1               ; fp8_utils_aot.py:74:33
	v_and_b32_e32 v144, 0xffff8000, v144
	.loc	1 66 20                         ; fp8_utils_aot.py:66:20
	v_cndmask_b32_e64 v164, v199, v164, s[54:55]
	v_cndmask_b32_e64 v146, v199, v146, s[10:11]
	.loc	1 74 33                         ; fp8_utils_aot.py:74:33
	v_or_b32_e32 v124, v124, v144
	.loc	1 66 20                         ; fp8_utils_aot.py:66:20
	v_lshlrev_b16_sdwa v144, v213, v128 dst_sel:DWORD dst_unused:UNUSED_PAD src0_sel:DWORD src1_sel:BYTE_3
	v_cndmask_b32_e64 v164, v201, v164, s[52:53]
	v_cndmask_b32_e64 v146, v201, v146, s[12:13]
	v_cmp_ne_u16_e64 s[30:31], 7, v145
	v_and_b32_sdwa v145, v128, s33 dst_sel:DWORD dst_unused:UNUSED_PAD src0_sel:BYTE_3 src1_sel:DWORD
	v_and_b32_e32 v144, 0x3f80, v144
	v_cndmask_b32_e64 v164, v205, v164, s[50:51]
	v_cndmask_b32_e64 v146, v205, v146, s[14:15]
	v_cmp_ne_u16_e64 s[6:7], s33, v145
	v_cmp_ne_u16_e64 s[8:9], 0, v145
	v_cmp_ne_u16_e64 s[10:11], 1, v145
	v_cmp_ne_u16_e64 s[12:13], 2, v145
	v_cmp_ne_u16_e64 s[14:15], 3, v145
	v_cmp_ne_u16_e64 s[62:63], 4, v145
	v_cmp_ne_u16_e64 s[64:65], 5, v145
	v_cmp_ne_u16_e64 s[42:43], 6, v145
	v_cmp_ne_u16_e64 s[72:73], 7, v145
	v_and_b32_sdwa v145, v128, s33 dst_sel:DWORD dst_unused:UNUSED_PAD src0_sel:WORD_1 src1_sel:DWORD
	v_add_u16_e32 v144, 0x2000, v144
	v_cndmask_b32_e64 v164, v207, v164, s[48:49]
	v_cmp_ne_u16_e64 s[44:45], s33, v145
	v_cmp_ne_u16_e64 s[46:47], 0, v145
	;; [unrolled: 1-line block ×9, first 2 shown]
	v_lshlrev_b16_sdwa v145, v211, v134 dst_sel:DWORD dst_unused:UNUSED_PAD src0_sel:DWORD src1_sel:WORD_1
	v_cndmask_b32_e64 v144, v193, v144, s[6:7]
	.loc	1 67 20                         ; fp8_utils_aot.py:67:20
	ds_read_u8 v122, v162 offset:4096
	ds_read_u8 v149, v162 offset:4224
	;; [unrolled: 1-line block ×4, first 2 shown]
	.loc	1 66 20                         ; fp8_utils_aot.py:66:20
	v_cndmask_b32_e64 v142, v209, v142, s[28:29]
	.loc	1 74 33                         ; fp8_utils_aot.py:74:33
	v_and_b32_e32 v145, 0xffff8000, v145
	.loc	1 66 20                         ; fp8_utils_aot.py:66:20
	v_cndmask_b32_e64 v144, 0, v144, s[8:9]
	.loc	1 74 33                         ; fp8_utils_aot.py:74:33
	v_or_b32_e32 v142, v142, v145
	.loc	1 66 20                         ; fp8_utils_aot.py:66:20
	v_lshlrev_b16_sdwa v145, v211, v134 dst_sel:DWORD dst_unused:UNUSED_PAD src0_sel:DWORD src1_sel:BYTE_3
	v_cndmask_b32_e64 v144, v195, v144, s[10:11]
	v_cndmask_b32_e64 v140, v209, v140, s[22:23]
	.loc	1 74 33                         ; fp8_utils_aot.py:74:33
	v_and_b32_e32 v145, 0xffff8000, v145
	.loc	1 66 20                         ; fp8_utils_aot.py:66:20
	v_lshlrev_b16_e32 v134, 8, v134
	v_cndmask_b32_e64 v144, v197, v144, s[12:13]
	.loc	1 0 0 is_stmt 0                 ; fp8_utils_aot.py:0
	v_lshrrev_b32_e32 v215, 8, v143
	.loc	1 66 20                         ; fp8_utils_aot.py:66:20
	v_cndmask_b32_e64 v126, v209, v126, s[20:21]
	.loc	1 74 33 is_stmt 1               ; fp8_utils_aot.py:74:33
	v_or_b32_e32 v140, v140, v145
	v_and_b32_e32 v134, 0xffff8000, v134
	.loc	1 66 20                         ; fp8_utils_aot.py:66:20
	v_cndmask_b32_e64 v144, v199, v144, s[14:15]
	.loc	1 74 33                         ; fp8_utils_aot.py:74:33
	v_or_b32_e32 v126, v126, v134
	.loc	1 66 20                         ; fp8_utils_aot.py:66:20
	v_cndmask_b32_e64 v144, v201, v144, s[62:63]
	.loc	1 74 33                         ; fp8_utils_aot.py:74:33
	v_perm_b32 v145, v140, v142, s74
	.loc	1 66 20                         ; fp8_utils_aot.py:66:20
	v_and_b32_e32 v142, 0x7f, v215
	v_cndmask_b32_e64 v180, v205, v144, s[64:65]
	.loc	1 74 33                         ; fp8_utils_aot.py:74:33
	v_perm_b32 v144, v124, v126, s74
	.loc	1 66 20                         ; fp8_utils_aot.py:66:20
	v_cndmask_b32_e64 v126, v209, v164, s[24:25]
	v_cmp_ne_u16_e64 s[24:25], s33, v142
	v_cmp_ne_u16_e64 s[78:79], 0, v142
	;; [unrolled: 1-line block ×9, first 2 shown]
	.loc	1 67 20                         ; fp8_utils_aot.py:67:20
	s_waitcnt lgkmcnt(0)
	v_lshlrev_b16_e32 v142, 7, v163
	.loc	1 66 20                         ; fp8_utils_aot.py:66:20
	v_cndmask_b32_e64 v176, v207, v146, s[60:61]
	.loc	1 67 20                         ; fp8_utils_aot.py:67:20
	v_and_b32_e32 v142, 0x3f80, v142
	v_and_b32_e32 v146, 0x7f, v163
	v_add_u16_e32 v142, 0x2000, v142
	v_cmp_ne_u16_e64 s[2:3], s33, v146
	v_cndmask_b32_e64 v142, v193, v142, s[2:3]
	v_cmp_ne_u16_e64 s[2:3], 0, v146
	v_cndmask_b32_e64 v142, 0, v142, s[2:3]
	;; [unrolled: 2-line block ×8, first 2 shown]
	v_cmp_ne_u16_e64 s[2:3], 7, v146
	v_lshlrev_b16_e32 v146, 7, v168
	v_and_b32_e32 v146, 0x3f80, v146
	v_and_b32_e32 v147, 0x7f, v168
	v_add_u16_e32 v146, 0x2000, v146
	v_cmp_ne_u16_e64 s[10:11], s33, v147
	v_cndmask_b32_e64 v146, v193, v146, s[10:11]
	v_cmp_ne_u16_e64 s[10:11], 0, v147
	v_cndmask_b32_e64 v146, 0, v146, s[10:11]
	;; [unrolled: 2-line block ×8, first 2 shown]
	v_cmp_ne_u16_e64 s[10:11], 7, v147
	v_lshlrev_b16_e32 v147, 7, v149
	v_lshlrev_b16_e32 v136, 8, v149
	v_and_b32_e32 v147, 0x3f80, v147
	v_and_b32_e32 v149, 0x7f, v149
	v_add_u16_e32 v147, 0x2000, v147
	v_cmp_ne_u16_e64 s[12:13], s33, v149
	v_cndmask_b32_e64 v147, v193, v147, s[12:13]
	v_cmp_ne_u16_e64 s[12:13], 0, v149
	v_cndmask_b32_e64 v147, 0, v147, s[12:13]
	;; [unrolled: 2-line block ×8, first 2 shown]
	v_cmp_ne_u16_e64 s[12:13], 7, v149
	v_lshlrev_b16_e32 v149, 7, v122
	v_lshlrev_b16_e32 v120, 8, v122
	v_and_b32_e32 v149, 0x3f80, v149
	v_and_b32_e32 v122, 0x7f, v122
	v_add_u16_e32 v149, 0x2000, v149
	v_cmp_ne_u16_e64 s[14:15], s33, v122
	v_cndmask_b32_e64 v149, v193, v149, s[14:15]
	v_cmp_ne_u16_e64 s[14:15], 0, v122
	v_cndmask_b32_e64 v149, 0, v149, s[14:15]
	;; [unrolled: 2-line block ×7, first 2 shown]
	v_cmp_ne_u16_e64 s[14:15], 6, v122
	v_lshlrev_b16_e32 v134, 8, v168
	v_lshlrev_b16_e32 v124, 8, v163
	v_cndmask_b32_e64 v149, v207, v149, s[14:15]
	v_cmp_ne_u16_e64 s[14:15], 7, v122
	v_and_b32_e32 v120, 0xffff8000, v120
	v_cndmask_b32_e64 v149, v209, v149, s[14:15]
	v_and_b32_e32 v136, 0xffff8000, v136
	v_cndmask_b32_e64 v147, v209, v147, s[12:13]
	;; [unrolled: 2-line block ×4, first 2 shown]
	.loc	1 0 0 is_stmt 0                 ; fp8_utils_aot.py:0
	v_lshrrev_b32_e32 v221, 8, v118
	.loc	1 67 20                         ; fp8_utils_aot.py:67:20
	v_or_b32_e32 v120, v149, v120
	v_or_b32_e32 v136, v147, v136
	;; [unrolled: 1-line block ×4, first 2 shown]
	.loc	1 74 33 is_stmt 1               ; fp8_utils_aot.py:74:33
	v_perm_b32 v147, v124, v134, s74
	v_perm_b32 v146, v136, v120, s74
	.loc	1 66 20                         ; fp8_utils_aot.py:66:20
	v_lshlrev_b16_e32 v120, 7, v221
	v_and_b32_e32 v120, 0x3f80, v120
	v_and_b32_e32 v124, 0x7f, v221
	v_cndmask_b32_e32 v164, v209, v166, vcc
	v_lshlrev_b16_e32 v142, 7, v118
	v_add_u16_e32 v120, 0x2000, v120
	v_cmp_ne_u16_e32 vcc, s33, v124
	v_and_b32_e32 v142, 0x3f80, v142
	v_cndmask_b32_e32 v120, v193, v120, vcc
	v_cmp_ne_u16_e32 vcc, 0, v124
	v_cndmask_b32_e32 v120, 0, v120, vcc
	v_cmp_ne_u16_e32 vcc, 1, v124
	v_and_b32_e32 v134, 0x7f, v118
	v_add_u16_e32 v136, 0x2000, v142
	v_lshlrev_b16_sdwa v142, v213, v118 dst_sel:DWORD dst_unused:UNUSED_PAD src0_sel:DWORD src1_sel:BYTE_3
	v_cndmask_b32_e32 v120, v195, v120, vcc
	v_cmp_ne_u16_e32 vcc, s33, v134
	.loc	1 74 33                         ; fp8_utils_aot.py:74:33
	v_mfma_f32_32x32x8f16 v[0:15], v[146:147], v[144:145], v[0:15]
	.loc	1 66 20                         ; fp8_utils_aot.py:66:20
	v_and_b32_e32 v142, 0x3f80, v142
	v_and_b32_sdwa v144, v118, s33 dst_sel:DWORD dst_unused:UNUSED_PAD src0_sel:BYTE_3 src1_sel:DWORD
	v_cndmask_b32_e64 v148, v209, v148, s[0:1]
	v_cndmask_b32_e32 v136, v193, v136, vcc
	v_cmp_ne_u16_e32 vcc, 0, v134
	v_add_u16_e32 v142, 0x2000, v142
	v_cmp_ne_u16_e64 s[0:1], s33, v144
	v_cndmask_b32_e32 v136, 0, v136, vcc
	v_cmp_ne_u16_e32 vcc, 1, v134
	v_cndmask_b32_e64 v142, v193, v142, s[0:1]
	v_cmp_ne_u16_e64 s[0:1], 0, v144
	v_cndmask_b32_e32 v136, v195, v136, vcc
	v_cmp_ne_u16_e32 vcc, 2, v134
	v_cndmask_b32_e64 v142, 0, v142, s[0:1]
	;; [unrolled: 4-line block ×6, first 2 shown]
	v_cmp_ne_u16_e64 s[0:1], 5, v144
	v_cndmask_b32_e32 v136, v207, v136, vcc
	v_cmp_ne_u16_e32 vcc, 7, v134
	v_lshlrev_b16_sdwa v134, v213, v118 dst_sel:DWORD dst_unused:UNUSED_PAD src0_sel:DWORD src1_sel:WORD_1
	v_cndmask_b32_e64 v142, v205, v142, s[0:1]
	v_cmp_ne_u16_e64 s[0:1], 6, v144
	v_and_b32_e32 v134, 0x3f80, v134
	v_cndmask_b32_e64 v142, v207, v142, s[0:1]
	v_cmp_ne_u16_e64 s[0:1], 7, v144
	v_and_b32_sdwa v144, v118, s33 dst_sel:DWORD dst_unused:UNUSED_PAD src0_sel:WORD_1 src1_sel:DWORD
	v_add_u16_e32 v134, 0x2000, v134
	v_cmp_ne_u16_e64 s[2:3], s33, v144
	v_cndmask_b32_e64 v134, v193, v134, s[2:3]
	v_cmp_ne_u16_e64 s[2:3], 0, v144
	v_cndmask_b32_e64 v134, 0, v134, s[2:3]
	;; [unrolled: 2-line block ×5, first 2 shown]
	v_cmp_ne_u16_e64 s[2:3], 4, v144
	v_cmp_ne_u16_e64 s[10:11], 5, v144
	v_cndmask_b32_e64 v134, v201, v134, s[2:3]
	v_cmp_ne_u16_e64 s[12:13], 6, v144
	v_cndmask_b32_e64 v134, v205, v134, s[10:11]
	v_cmp_ne_u16_e64 s[14:15], 7, v144
	v_cmp_ne_u16_e64 s[2:3], 2, v124
	v_cndmask_b32_e64 v134, v207, v134, s[12:13]
	v_cmp_ne_u16_e64 s[10:11], 3, v124
	;; [unrolled: 3-line block ×3, first 2 shown]
	v_cndmask_b32_e64 v142, v209, v142, s[0:1]
	v_cmp_ne_u16_e64 s[0:1], 6, v124
	v_cndmask_b32_e32 v136, v209, v136, vcc
	v_cmp_ne_u16_e32 vcc, 7, v124
	v_lshlrev_b16_sdwa v124, v211, v118 dst_sel:DWORD dst_unused:UNUSED_PAD src0_sel:DWORD src1_sel:WORD_1
	v_cndmask_b32_e64 v120, v197, v120, s[2:3]
	.loc	1 74 33                         ; fp8_utils_aot.py:74:33
	v_and_b32_e32 v124, 0xffff8000, v124
	.loc	1 66 20                         ; fp8_utils_aot.py:66:20
	v_cndmask_b32_e64 v120, v199, v120, s[10:11]
	.loc	1 74 33                         ; fp8_utils_aot.py:74:33
	v_or_b32_e32 v124, v134, v124
	.loc	1 66 20                         ; fp8_utils_aot.py:66:20
	v_lshlrev_b16_sdwa v134, v211, v118 dst_sel:DWORD dst_unused:UNUSED_PAD src0_sel:DWORD src1_sel:BYTE_3
	v_cndmask_b32_e64 v120, v201, v120, s[12:13]
	.loc	1 74 33                         ; fp8_utils_aot.py:74:33
	v_and_b32_e32 v134, 0xffff8000, v134
	.loc	1 66 20                         ; fp8_utils_aot.py:66:20
	v_cndmask_b32_e64 v120, v205, v120, s[14:15]
	.loc	1 74 33                         ; fp8_utils_aot.py:74:33
	v_or_b32_e32 v134, v142, v134
	.loc	1 66 20                         ; fp8_utils_aot.py:66:20
	v_cndmask_b32_e64 v120, v207, v120, s[0:1]
	v_lshlrev_b16_e32 v142, 8, v221
	.loc	1 0 0 is_stmt 0                 ; fp8_utils_aot.py:0
	v_lshrrev_b32_e32 v159, 8, v141
	.loc	1 66 20                         ; fp8_utils_aot.py:66:20
	v_cndmask_b32_e32 v120, v209, v120, vcc
	.loc	1 74 33 is_stmt 1               ; fp8_utils_aot.py:74:33
	v_and_b32_e32 v142, 0xffff8000, v142
	v_or_b32_e32 v120, v120, v142
	.loc	1 66 20                         ; fp8_utils_aot.py:66:20
	v_and_b32_e32 v142, 0x7f, v159
	v_cmp_ne_u16_e64 s[0:1], 0, v142
	v_writelane_b32 v253, s0, 22
	v_writelane_b32 v253, s1, 23
	v_cmp_ne_u16_e64 s[0:1], 1, v142
	v_writelane_b32 v253, s0, 24
	v_writelane_b32 v253, s1, 25
	v_cmp_ne_u16_e64 s[0:1], 2, v142
	v_writelane_b32 v253, s0, 26
	v_lshlrev_b16_e32 v118, 8, v118
	v_writelane_b32 v253, s1, 27
	v_cmp_ne_u16_e64 s[0:1], 3, v142
	.loc	1 74 33                         ; fp8_utils_aot.py:74:33
	v_and_b32_e32 v118, 0xffff8000, v118
	.loc	1 66 20                         ; fp8_utils_aot.py:66:20
	v_writelane_b32 v253, s0, 28
	v_lshlrev_b16_e32 v122, 8, v132
	.loc	1 74 33                         ; fp8_utils_aot.py:74:33
	v_or_b32_e32 v118, v136, v118
	.loc	1 66 20                         ; fp8_utils_aot.py:66:20
	v_writelane_b32 v253, s1, 29
	v_cmp_ne_u16_e64 s[0:1], 4, v142
	v_cndmask_b32_e64 v140, v209, v170, s[26:27]
	v_lshlrev_b16_e32 v163, 8, v223
	v_lshlrev_b16_sdwa v149, v211, v132 dst_sel:DWORD dst_unused:UNUSED_PAD src0_sel:DWORD src1_sel:WORD_1
	v_lshlrev_b16_sdwa v132, v211, v132 dst_sel:DWORD dst_unused:UNUSED_PAD src0_sel:DWORD src1_sel:BYTE_3
	.loc	1 74 33                         ; fp8_utils_aot.py:74:33
	v_perm_b32 v144, v120, v118, s74
	v_perm_b32 v145, v134, v124, s74
	.loc	1 66 20                         ; fp8_utils_aot.py:66:20
	v_writelane_b32 v253, s0, 30
	.loc	1 74 33                         ; fp8_utils_aot.py:74:33
	v_and_b32_e32 v122, 0xffff8000, v122
	.loc	1 66 20                         ; fp8_utils_aot.py:66:20
	v_lshlrev_b16_e32 v166, 8, v143
	v_lshlrev_b16_e32 v136, 7, v143
	v_and_b32_e32 v168, 0x7f, v143
	v_lshlrev_b16_sdwa v118, v211, v143 dst_sel:DWORD dst_unused:UNUSED_PAD src0_sel:DWORD src1_sel:WORD_1
	v_lshlrev_b16_sdwa v120, v213, v143 dst_sel:DWORD dst_unused:UNUSED_PAD src0_sel:DWORD src1_sel:WORD_1
	.loc	1 74 33                         ; fp8_utils_aot.py:74:33
	v_mfma_f32_32x32x8f16 v[16:31], v[146:147], v[144:145], v[16:31]
	.loc	1 66 20                         ; fp8_utils_aot.py:66:20
	v_and_b32_sdwa v124, v143, s33 dst_sel:DWORD dst_unused:UNUSED_PAD src0_sel:WORD_1 src1_sel:DWORD
	v_lshlrev_b16_sdwa v134, v211, v143 dst_sel:DWORD dst_unused:UNUSED_PAD src0_sel:DWORD src1_sel:BYTE_3
	v_lshlrev_b16_sdwa v144, v213, v143 dst_sel:DWORD dst_unused:UNUSED_PAD src0_sel:DWORD src1_sel:BYTE_3
	v_and_b32_sdwa v145, v143, s33 dst_sel:DWORD dst_unused:UNUSED_PAD src0_sel:BYTE_3 src1_sel:DWORD
	v_cmp_ne_u16_e64 s[62:63], s33, v142
	v_writelane_b32 v253, s1, 31
	v_cndmask_b32_e64 v143, v209, v155, s[40:41]
	v_cmp_ne_u16_e64 s[60:61], 5, v142
	v_cmp_ne_u16_e64 s[40:41], 6, v142
	;; [unrolled: 1-line block ×3, first 2 shown]
	.loc	1 74 33                         ; fp8_utils_aot.py:74:33
	v_and_b32_e32 v142, 0xffff8000, v149
	v_and_b32_e32 v132, 0xffff8000, v132
	v_or_b32_e32 v122, v140, v122
	v_and_b32_e32 v140, 0xffff8000, v163
	v_or_b32_e32 v142, v148, v142
	v_or_b32_e32 v132, v164, v132
	;; [unrolled: 1-line block ×3, first 2 shown]
	.loc	1 66 20                         ; fp8_utils_aot.py:66:20
	v_lshlrev_b16_e32 v170, 8, v141
	v_lshlrev_b16_e32 v155, 7, v141
	v_and_b32_e32 v148, 0x7f, v141
	v_lshlrev_b16_sdwa v149, v211, v141 dst_sel:DWORD dst_unused:UNUSED_PAD src0_sel:DWORD src1_sel:WORD_1
	v_lshlrev_b16_sdwa v164, v213, v141 dst_sel:DWORD dst_unused:UNUSED_PAD src0_sel:DWORD src1_sel:WORD_1
	v_and_b32_sdwa v163, v141, s33 dst_sel:DWORD dst_unused:UNUSED_PAD src0_sel:WORD_1 src1_sel:DWORD
	.loc	1 74 33                         ; fp8_utils_aot.py:74:33
	v_perm_b32 v146, v126, v122, s74
	v_perm_b32 v147, v132, v142, s74
	.loc	1 66 20                         ; fp8_utils_aot.py:66:20
	v_lshlrev_b16_sdwa v122, v211, v141 dst_sel:DWORD dst_unused:UNUSED_PAD src0_sel:DWORD src1_sel:BYTE_3
	v_lshlrev_b16_sdwa v126, v213, v141 dst_sel:DWORD dst_unused:UNUSED_PAD src0_sel:DWORD src1_sel:BYTE_3
	v_and_b32_sdwa v132, v141, s33 dst_sel:DWORD dst_unused:UNUSED_PAD src0_sel:BYTE_3 src1_sel:DWORD
	v_lshlrev_b16_sdwa v140, v211, v130 dst_sel:DWORD dst_unused:UNUSED_PAD src0_sel:DWORD src1_sel:WORD_1
	v_lshlrev_b16_sdwa v141, v211, v130 dst_sel:DWORD dst_unused:UNUSED_PAD src0_sel:DWORD src1_sel:BYTE_3
	v_cndmask_b32_e64 v154, v209, v154, s[16:17]
	.loc	1 74 33                         ; fp8_utils_aot.py:74:33
	v_and_b32_e32 v140, 0xffff8000, v140
	v_and_b32_e32 v141, 0xffff8000, v141
	.loc	1 66 20                         ; fp8_utils_aot.py:66:20
	v_lshlrev_b16_e32 v130, 8, v130
	v_lshlrev_b16_e32 v142, 8, v219
	.loc	1 0 0 is_stmt 0                 ; fp8_utils_aot.py:0
	v_lshrrev_b32_e32 v158, 8, v139
	.loc	1 66 20                         ; fp8_utils_aot.py:66:20
	v_cndmask_b32_e64 v138, v209, v138, s[36:37]
	.loc	1 74 33 is_stmt 1               ; fp8_utils_aot.py:74:33
	v_or_b32_e32 v140, v143, v140
	v_or_b32_e32 v141, v154, v141
	v_and_b32_e32 v130, 0xffff8000, v130
	.loc	1 66 20                         ; fp8_utils_aot.py:66:20
	v_cndmask_b32_e64 v143, v209, v172, s[68:69]
	.loc	1 74 33                         ; fp8_utils_aot.py:74:33
	v_and_b32_e32 v142, 0xffff8000, v142
	.loc	1 66 20                         ; fp8_utils_aot.py:66:20
	v_and_b32_e32 v120, 0x3f80, v120
	v_writelane_b32 v253, s0, 32
	.loc	1 74 33                         ; fp8_utils_aot.py:74:33
	v_or_b32_e32 v130, v138, v130
	.loc	1 66 20                         ; fp8_utils_aot.py:66:20
	v_lshlrev_b16_sdwa v138, v213, v128 dst_sel:DWORD dst_unused:UNUSED_PAD src0_sel:DWORD src1_sel:WORD_1
	.loc	1 74 33                         ; fp8_utils_aot.py:74:33
	v_or_b32_e32 v142, v143, v142
	v_perm_b32 v143, v141, v140, s74
	.loc	1 66 20                         ; fp8_utils_aot.py:66:20
	v_and_b32_e32 v140, 0x7f, v158
	v_cmp_ne_u16_e32 vcc, s33, v124
	v_add_u16_e32 v120, 0x2000, v120
	v_writelane_b32 v253, s1, 33
	v_and_b32_e32 v138, 0x3f80, v138
	v_cmp_ne_u16_e64 s[0:1], s33, v140
	v_cmp_ne_u16_e64 s[16:17], 0, v124
	v_cndmask_b32_e32 v120, v193, v120, vcc
	v_add_u16_e32 v138, 0x2000, v138
	v_writelane_b32 v253, s0, 34
	v_cmp_ne_u16_e64 s[26:27], 1, v124
	v_cndmask_b32_e64 v120, 0, v120, s[16:17]
	v_cndmask_b32_e64 v138, v193, v138, s[44:45]
	v_writelane_b32 v253, s1, 35
	v_cmp_ne_u16_e64 s[0:1], 0, v140
	v_cmp_ne_u16_e64 s[28:29], 2, v124
	v_cndmask_b32_e64 v120, v195, v120, s[26:27]
	v_cndmask_b32_e64 v138, 0, v138, s[46:47]
	v_writelane_b32 v253, s0, 36
	v_cmp_ne_u16_e64 s[46:47], 3, v124
	v_cndmask_b32_e64 v120, v197, v120, s[28:29]
	v_writelane_b32 v253, s1, 37
	v_cmp_ne_u16_e64 s[0:1], 1, v140
	v_cmp_ne_u16_e64 s[80:81], 4, v124
	v_cndmask_b32_e64 v120, v199, v120, s[46:47]
	v_writelane_b32 v253, s0, 38
	v_cmp_ne_u16_e64 s[82:83], 5, v124
	v_cndmask_b32_e64 v120, v201, v120, s[80:81]
	v_writelane_b32 v253, s1, 39
	v_cmp_ne_u16_e64 s[0:1], 2, v140
	v_cmp_ne_u16_e64 s[84:85], 6, v124
	v_cndmask_b32_e64 v120, v205, v120, s[82:83]
	v_writelane_b32 v253, s0, 40
	v_cmp_ne_u16_e64 s[86:87], 7, v124
	v_cndmask_b32_e64 v120, v207, v120, s[84:85]
	v_writelane_b32 v253, s1, 41
	v_cmp_ne_u16_e64 s[0:1], 3, v140
	v_cndmask_b32_e64 v120, v209, v120, s[86:87]
	.loc	1 74 33                         ; fp8_utils_aot.py:74:33
	v_and_b32_e32 v118, 0xffff8000, v118
	.loc	1 66 20                         ; fp8_utils_aot.py:66:20
	v_writelane_b32 v253, s0, 42
	.loc	1 74 33                         ; fp8_utils_aot.py:74:33
	v_or_b32_e32 v118, v120, v118
	.loc	1 66 20                         ; fp8_utils_aot.py:66:20
	v_and_b32_e32 v120, 0x3f80, v144
	v_writelane_b32 v253, s1, 43
	v_cmp_ne_u16_e64 s[0:1], 4, v140
	v_add_u16_e32 v120, 0x2000, v120
	v_cmp_ne_u16_e32 vcc, s33, v145
	v_cndmask_b32_e64 v138, v195, v138, s[48:49]
	v_writelane_b32 v253, s0, 44
	v_lshlrev_b16_e32 v124, 7, v215
	v_cndmask_b32_e32 v120, v193, v120, vcc
	v_cmp_ne_u16_e32 vcc, 0, v145
	v_cndmask_b32_e64 v138, v197, v138, s[50:51]
	v_writelane_b32 v253, s1, 45
	v_cmp_ne_u16_e64 s[0:1], 5, v140
	v_and_b32_e32 v124, 0x3f80, v124
	v_cndmask_b32_e32 v120, 0, v120, vcc
	v_cmp_ne_u16_e32 vcc, 1, v145
	v_cndmask_b32_e64 v138, v199, v138, s[52:53]
	v_writelane_b32 v253, s0, 46
	v_add_u16_e32 v124, 0x2000, v124
	v_cndmask_b32_e32 v120, v195, v120, vcc
	v_cmp_ne_u16_e32 vcc, 2, v145
	v_cndmask_b32_e64 v138, v201, v138, s[54:55]
	v_writelane_b32 v253, s1, 47
	v_cmp_ne_u16_e64 s[0:1], 6, v140
	v_cndmask_b32_e64 v124, v193, v124, s[24:25]
	v_cndmask_b32_e32 v120, v197, v120, vcc
	v_cmp_ne_u16_e32 vcc, 3, v145
	v_cndmask_b32_e64 v138, v205, v138, s[56:57]
	v_writelane_b32 v253, s0, 48
	v_cndmask_b32_e64 v124, 0, v124, s[78:79]
	v_cndmask_b32_e32 v120, v199, v120, vcc
	v_cmp_ne_u16_e32 vcc, 4, v145
	v_and_b32_e32 v136, 0x3f80, v136
	v_cndmask_b32_e64 v138, v207, v138, s[58:59]
	v_writelane_b32 v253, s1, 49
	v_cmp_ne_u16_e64 s[0:1], 7, v140
	v_lshlrev_b16_sdwa v140, v211, v128 dst_sel:DWORD dst_unused:UNUSED_PAD src0_sel:DWORD src1_sel:WORD_1
	v_cndmask_b32_e64 v124, v195, v124, s[4:5]
	v_cmp_ne_u16_e64 s[4:5], 5, v145
	v_cndmask_b32_e32 v120, v201, v120, vcc
	v_add_u16_e32 v136, 0x2000, v136
	v_cmp_ne_u16_e32 vcc, s33, v168
	v_cndmask_b32_e64 v154, v207, v180, s[42:43]
	v_lshlrev_b16_e32 v172, 8, v128
	v_cndmask_b32_e64 v138, v209, v138, s[38:39]
	.loc	1 74 33                         ; fp8_utils_aot.py:74:33
	v_and_b32_e32 v140, 0xffff8000, v140
	.loc	1 66 20                         ; fp8_utils_aot.py:66:20
	v_lshlrev_b16_sdwa v128, v211, v128 dst_sel:DWORD dst_unused:UNUSED_PAD src0_sel:DWORD src1_sel:BYTE_3
	v_cndmask_b32_e64 v124, v197, v124, s[6:7]
	v_cmp_ne_u16_e64 s[6:7], 6, v145
	v_cndmask_b32_e64 v120, v205, v120, s[4:5]
	v_cndmask_b32_e32 v136, v193, v136, vcc
	v_cmp_ne_u16_e32 vcc, 0, v168
	v_lshlrev_b16_e32 v180, 8, v217
	.loc	1 74 33                         ; fp8_utils_aot.py:74:33
	v_or_b32_e32 v138, v138, v140
	.loc	1 66 20                         ; fp8_utils_aot.py:66:20
	v_cndmask_b32_e64 v140, v209, v154, s[72:73]
	.loc	1 74 33                         ; fp8_utils_aot.py:74:33
	v_and_b32_e32 v128, 0xffff8000, v128
	.loc	1 66 20                         ; fp8_utils_aot.py:66:20
	v_cndmask_b32_e64 v124, v199, v124, s[8:9]
	v_cmp_ne_u16_e64 s[8:9], 7, v145
	v_cndmask_b32_e64 v120, v207, v120, s[6:7]
	v_cndmask_b32_e32 v136, 0, v136, vcc
	v_cmp_ne_u16_e32 vcc, 1, v168
	v_cndmask_b32_e64 v176, v209, v176, s[70:71]
	v_cndmask_b32_e64 v178, v209, v178, s[30:31]
	.loc	1 74 33                         ; fp8_utils_aot.py:74:33
	v_or_b32_e32 v128, v140, v128
	v_and_b32_e32 v140, 0xffff8000, v172
	v_and_b32_e32 v141, 0xffff8000, v180
	.loc	1 66 20                         ; fp8_utils_aot.py:66:20
	v_cndmask_b32_e64 v120, v209, v120, s[8:9]
	.loc	1 74 33                         ; fp8_utils_aot.py:74:33
	v_and_b32_e32 v134, 0xffff8000, v134
	.loc	1 66 20                         ; fp8_utils_aot.py:66:20
	v_cndmask_b32_e32 v136, v195, v136, vcc
	v_cmp_ne_u16_e32 vcc, 2, v168
	.loc	1 74 33                         ; fp8_utils_aot.py:74:33
	v_or_b32_e32 v140, v178, v140
	v_or_b32_e32 v141, v176, v141
	;; [unrolled: 1-line block ×3, first 2 shown]
	.loc	1 66 20                         ; fp8_utils_aot.py:66:20
	v_cndmask_b32_e32 v136, v197, v136, vcc
	v_cmp_ne_u16_e32 vcc, 3, v168
	.loc	1 74 33                         ; fp8_utils_aot.py:74:33
	v_perm_b32 v142, v142, v130, s74
	.loc	1 66 20                         ; fp8_utils_aot.py:66:20
	v_lshlrev_b16_e32 v130, 7, v139
	v_and_b32_e32 v154, 0x7f, v139
	v_lshlrev_b16_e32 v172, 8, v139
	v_lshlrev_b16_sdwa v176, v211, v139 dst_sel:DWORD dst_unused:UNUSED_PAD src0_sel:DWORD src1_sel:WORD_1
	.loc	1 74 33                         ; fp8_utils_aot.py:74:33
	v_perm_b32 v140, v141, v140, s74
	v_perm_b32 v141, v128, v138, s74
	.loc	1 66 20                         ; fp8_utils_aot.py:66:20
	v_lshlrev_b16_sdwa v128, v213, v139 dst_sel:DWORD dst_unused:UNUSED_PAD src0_sel:DWORD src1_sel:WORD_1
	v_and_b32_sdwa v178, v139, s33 dst_sel:DWORD dst_unused:UNUSED_PAD src0_sel:WORD_1 src1_sel:DWORD
	v_lshlrev_b16_sdwa v180, v211, v139 dst_sel:DWORD dst_unused:UNUSED_PAD src0_sel:DWORD src1_sel:BYTE_3
	v_lshlrev_b16_sdwa v217, v213, v139 dst_sel:DWORD dst_unused:UNUSED_PAD src0_sel:DWORD src1_sel:BYTE_3
	v_and_b32_sdwa v219, v139, s33 dst_sel:DWORD dst_unused:UNUSED_PAD src0_sel:BYTE_3 src1_sel:DWORD
	v_cndmask_b32_e32 v136, v199, v136, vcc
	v_cmp_ne_u16_e32 vcc, 4, v168
	.loc	1 74 33                         ; fp8_utils_aot.py:74:33
	v_perm_b32 v139, v120, v118, s74
	.loc	1 66 20                         ; fp8_utils_aot.py:66:20
	v_and_b32_e32 v120, 0x3f80, v164
	v_cmp_ne_u16_e64 s[4:5], 5, v168
	v_cndmask_b32_e32 v136, v201, v136, vcc
	v_cmp_ne_u16_e32 vcc, s33, v163
	v_add_u16_e32 v120, 0x2000, v120
	v_cmp_ne_u16_e64 s[6:7], 6, v168
	v_cndmask_b32_e64 v136, v205, v136, s[4:5]
	v_cmp_ne_u16_e64 s[4:5], 0, v163
	v_cndmask_b32_e32 v120, v193, v120, vcc
	v_cmp_ne_u16_e64 s[8:9], 7, v168
	v_cndmask_b32_e64 v136, v207, v136, s[6:7]
	v_cmp_ne_u16_e64 s[6:7], 1, v163
	v_cndmask_b32_e64 v120, 0, v120, s[4:5]
	v_cndmask_b32_e64 v136, v209, v136, s[8:9]
	v_cmp_ne_u16_e64 s[8:9], 2, v163
	v_cndmask_b32_e64 v120, v195, v120, s[6:7]
	v_cndmask_b32_e64 v124, v201, v124, s[66:67]
	v_cmp_ne_u16_e64 s[16:17], 3, v163
	v_cndmask_b32_e64 v120, v197, v120, s[8:9]
	v_cndmask_b32_e64 v124, v205, v124, s[18:19]
	.loc	1 74 33                         ; fp8_utils_aot.py:74:33
	v_and_b32_e32 v138, 0xffff8000, v166
	.loc	1 66 20                         ; fp8_utils_aot.py:66:20
	v_cmp_ne_u16_e64 s[18:19], 4, v163
	v_cndmask_b32_e64 v120, v199, v120, s[16:17]
	v_cndmask_b32_e64 v124, v207, v124, s[20:21]
	.loc	1 74 33                         ; fp8_utils_aot.py:74:33
	v_or_b32_e32 v136, v136, v138
	.loc	1 66 20                         ; fp8_utils_aot.py:66:20
	v_lshlrev_b16_e32 v138, 8, v215
	v_cmp_ne_u16_e64 s[20:21], 5, v163
	v_cndmask_b32_e64 v120, v201, v120, s[18:19]
	v_cndmask_b32_e64 v124, v209, v124, s[76:77]
	.loc	1 74 33                         ; fp8_utils_aot.py:74:33
	v_and_b32_e32 v138, 0xffff8000, v138
	.loc	1 66 20                         ; fp8_utils_aot.py:66:20
	v_cmp_ne_u16_e64 s[24:25], 6, v163
	v_cndmask_b32_e64 v120, v205, v120, s[20:21]
	.loc	1 74 33                         ; fp8_utils_aot.py:74:33
	v_or_b32_e32 v124, v124, v138
	.loc	1 66 20                         ; fp8_utils_aot.py:66:20
	v_cmp_ne_u16_e64 s[26:27], 7, v163
	v_cndmask_b32_e64 v120, v207, v120, s[24:25]
	.loc	1 74 33                         ; fp8_utils_aot.py:74:33
	v_perm_b32 v138, v124, v136, s74
	.loc	1 66 20                         ; fp8_utils_aot.py:66:20
	v_cndmask_b32_e64 v120, v209, v120, s[26:27]
	.loc	1 74 33                         ; fp8_utils_aot.py:74:33
	v_and_b32_e32 v124, 0xffff8000, v149
	v_or_b32_e32 v120, v120, v124
	.loc	1 66 20                         ; fp8_utils_aot.py:66:20
	v_and_b32_e32 v124, 0x3f80, v126
	v_cmp_ne_u16_e32 vcc, s33, v132
	v_add_u16_e32 v124, 0x2000, v124
	v_cmp_ne_u16_e64 s[4:5], 0, v132
	v_cndmask_b32_e32 v124, v193, v124, vcc
	v_cmp_ne_u16_e64 s[6:7], 1, v132
	v_cndmask_b32_e64 v124, 0, v124, s[4:5]
	v_cmp_ne_u16_e64 s[8:9], 2, v132
	v_cndmask_b32_e64 v124, v195, v124, s[6:7]
	;; [unrolled: 2-line block ×7, first 2 shown]
	v_cndmask_b32_e64 v124, v209, v124, s[26:27]
	.loc	1 74 33                         ; fp8_utils_aot.py:74:33
	v_and_b32_e32 v122, 0xffff8000, v122
	v_or_b32_e32 v122, v124, v122
	.loc	1 66 20                         ; fp8_utils_aot.py:66:20
	v_and_b32_e32 v124, 0x3f80, v155
	v_cmp_ne_u16_e32 vcc, s33, v148
	v_add_u16_e32 v124, 0x2000, v124
	v_cmp_ne_u16_e64 s[4:5], 0, v148
	v_cndmask_b32_e32 v124, v193, v124, vcc
	v_writelane_b32 v253, s0, 50
	v_cmp_ne_u16_e64 s[6:7], 1, v148
	v_cndmask_b32_e64 v124, 0, v124, s[4:5]
	v_writelane_b32 v253, s1, 51
	v_cmp_ne_u16_e64 s[0:1], 0, v154
	v_cmp_ne_u16_e64 s[8:9], 2, v148
	v_cndmask_b32_e64 v124, v195, v124, s[6:7]
	v_writelane_b32 v253, s0, 52
	v_cmp_ne_u16_e64 s[16:17], 3, v148
	v_cndmask_b32_e64 v124, v197, v124, s[8:9]
	v_writelane_b32 v253, s1, 53
	v_cmp_ne_u16_e64 s[0:1], 5, v154
	v_cmp_ne_u16_e64 s[18:19], 4, v148
	v_cndmask_b32_e64 v124, v199, v124, s[16:17]
	;; [unrolled: 7-line block ×3, first 2 shown]
	v_writelane_b32 v253, s0, 56
	v_cmp_ne_u16_e64 s[26:27], 7, v148
	v_cndmask_b32_e64 v124, v207, v124, s[24:25]
	v_cmp_ne_u16_e64 s[50:51], s33, v154
	v_cmp_ne_u16_e64 s[54:55], 1, v154
	;; [unrolled: 1-line block ×5, first 2 shown]
	v_writelane_b32 v253, s1, 57
	v_cmp_ne_u16_e64 s[0:1], 7, v154
	.loc	1 0 0 is_stmt 0                 ; fp8_utils_aot.py:0
	v_lshrrev_b32_e32 v154, 8, v137
	.loc	1 66 20                         ; fp8_utils_aot.py:66:20
	v_cndmask_b32_e64 v124, v209, v124, s[26:27]
	.loc	1 74 33 is_stmt 1               ; fp8_utils_aot.py:74:33
	v_and_b32_e32 v126, 0xffff8000, v170
	.loc	1 66 20                         ; fp8_utils_aot.py:66:20
	v_writelane_b32 v253, s0, 58
	.loc	1 74 33                         ; fp8_utils_aot.py:74:33
	v_or_b32_e32 v124, v124, v126
	.loc	1 66 20                         ; fp8_utils_aot.py:66:20
	v_and_b32_e32 v126, 0x7f, v154
	v_writelane_b32 v253, s1, 59
	v_cmp_ne_u16_e64 s[36:37], 7, v126
	v_and_b32_e32 v134, 0x7f, v137
	v_writelane_b32 v253, s36, 60
	v_writelane_b32 v253, s37, 61
	v_cmp_ne_u16_e64 s[36:37], 7, v134
	v_cmp_ne_u16_e64 s[94:95], s33, v126
	;; [unrolled: 1-line block ×9, first 2 shown]
	v_writelane_b32 v253, s36, 62
	v_lshlrev_b16_e32 v126, 7, v159
	v_writelane_b32 v253, s37, 63
	v_and_b32_e32 v126, 0x3f80, v126
	v_add_u16_e32 v126, 0x2000, v126
	v_readlane_b32 s36, v253, 22
	v_cndmask_b32_e64 v126, v193, v126, s[62:63]
	v_readlane_b32 s37, v253, 23
	v_cndmask_b32_e64 v126, 0, v126, s[36:37]
	v_readlane_b32 s36, v253, 24
	v_readlane_b32 s37, v253, 25
	v_cndmask_b32_e64 v126, v195, v126, s[36:37]
	v_readlane_b32 s36, v253, 26
	;; [unrolled: 3-line block ×4, first 2 shown]
	v_and_b32_sdwa v118, v137, s33 dst_sel:DWORD dst_unused:UNUSED_PAD src0_sel:BYTE_3 src1_sel:DWORD
	v_readlane_b32 s37, v253, 31
	v_cndmask_b32_e64 v126, v201, v126, s[36:37]
	v_cmp_ne_u16_e64 s[48:49], 7, v118
	v_cndmask_b32_e64 v126, v205, v126, s[60:61]
	v_writelane_b32 v253, s48, 22
	v_cndmask_b32_e64 v126, v207, v126, s[40:41]
	v_cmp_ne_u16_e64 s[46:47], s33, v118
	v_cmp_ne_u16_e64 s[40:41], 0, v118
	;; [unrolled: 1-line block ×8, first 2 shown]
	v_writelane_b32 v253, s49, 23
	v_lshlrev_b16_e32 v118, 7, v158
	v_and_b32_e32 v118, 0x3f80, v118
	v_readlane_b32 s48, v253, 34
	v_add_u16_e32 v118, 0x2000, v118
	v_readlane_b32 s49, v253, 35
	v_cndmask_b32_e64 v118, v193, v118, s[48:49]
	v_readlane_b32 s48, v253, 36
	v_readlane_b32 s49, v253, 37
	v_cndmask_b32_e64 v118, 0, v118, s[48:49]
	v_readlane_b32 s48, v253, 38
	;; [unrolled: 3-line block ×7, first 2 shown]
	v_readlane_b32 s49, v253, 49
	v_cndmask_b32_e64 v132, v207, v118, s[48:49]
	v_and_b32_e32 v118, 0x3f80, v130
	v_add_u16_e32 v118, 0x2000, v118
	v_readlane_b32 s48, v253, 52
	v_cndmask_b32_e64 v118, v193, v118, s[50:51]
	v_readlane_b32 s49, v253, 53
	v_cndmask_b32_e64 v118, 0, v118, s[48:49]
	v_cndmask_b32_e64 v118, v195, v118, s[54:55]
	v_cndmask_b32_e64 v118, v197, v118, s[56:57]
	v_cndmask_b32_e64 v118, v199, v118, s[58:59]
	v_readlane_b32 s48, v253, 54
	v_cndmask_b32_e64 v118, v201, v118, s[52:53]
	v_readlane_b32 s49, v253, 55
	v_cndmask_b32_e64 v118, v205, v118, s[48:49]
	v_readlane_b32 s48, v253, 56
	v_readlane_b32 s49, v253, 57
	v_cndmask_b32_e64 v130, v207, v118, s[48:49]
	v_and_b32_e32 v118, 0x3f80, v217
	v_cmp_ne_u16_e32 vcc, s33, v219
	v_add_u16_e32 v118, 0x2000, v118
	v_cmp_ne_u16_e64 s[0:1], 0, v219
	v_cndmask_b32_e32 v118, v193, v118, vcc
	v_cmp_ne_u16_e64 s[2:3], 1, v219
	v_cndmask_b32_e64 v118, 0, v118, s[0:1]
	v_cmp_ne_u16_e64 s[4:5], 2, v219
	v_cndmask_b32_e64 v118, v195, v118, s[2:3]
	;; [unrolled: 2-line block ×6, first 2 shown]
	v_cmp_ne_u16_e64 s[78:79], s33, v134
	v_cmp_ne_u16_e64 s[80:81], 0, v134
	;; [unrolled: 1-line block ×8, first 2 shown]
	v_cndmask_b32_e64 v134, v207, v118, s[12:13]
	v_and_b32_e32 v118, 0x3f80, v128
	v_cmp_ne_u16_e64 s[14:15], s33, v178
	v_add_u16_e32 v118, 0x2000, v118
	v_cmp_ne_u16_e64 s[16:17], 0, v178
	v_cndmask_b32_e64 v118, v193, v118, s[14:15]
	v_cmp_ne_u16_e64 s[18:19], 1, v178
	v_cndmask_b32_e64 v118, 0, v118, s[16:17]
	v_readlane_b32 s0, v253, 32
	v_cmp_ne_u16_e64 s[20:21], 2, v178
	v_cndmask_b32_e64 v118, v195, v118, s[18:19]
	v_readlane_b32 s1, v253, 33
	v_cmp_ne_u16_e64 s[22:23], 3, v178
	v_cndmask_b32_e64 v118, v197, v118, s[20:21]
	v_cndmask_b32_e64 v126, v209, v126, s[0:1]
	v_readlane_b32 s0, v253, 50
	v_cmp_ne_u16_e64 s[24:25], 4, v178
	v_cndmask_b32_e64 v118, v199, v118, s[22:23]
	v_readlane_b32 s1, v253, 51
	v_cmp_ne_u16_e64 s[26:27], 5, v178
	v_cndmask_b32_e64 v118, v201, v118, s[24:25]
	v_cndmask_b32_e64 v132, v209, v132, s[0:1]
	v_readlane_b32 s0, v253, 58
	v_cmp_ne_u16_e64 s[28:29], 6, v178
	v_cndmask_b32_e64 v118, v205, v118, s[26:27]
	v_readlane_b32 s1, v253, 59
	v_cmp_ne_u16_e64 s[34:35], 7, v219
	v_cmp_ne_u16_e64 s[30:31], 7, v178
	v_cndmask_b32_e64 v128, v207, v118, s[28:29]
	v_cndmask_b32_e64 v130, v209, v130, s[0:1]
	s_mov_b32 s0, 0x5040100
	v_lshlrev_b16_e32 v221, 7, v137
	v_lshlrev_b16_e32 v223, 8, v137
	v_lshlrev_b16_sdwa v166, v211, v137 dst_sel:DWORD dst_unused:UNUSED_PAD src0_sel:DWORD src1_sel:WORD_1
	v_lshlrev_b16_sdwa v215, v213, v137 dst_sel:DWORD dst_unused:UNUSED_PAD src0_sel:DWORD src1_sel:WORD_1
	v_and_b32_sdwa v225, v137, s33 dst_sel:DWORD dst_unused:UNUSED_PAD src0_sel:WORD_1 src1_sel:DWORD
	v_lshlrev_b16_sdwa v227, v211, v137 dst_sel:DWORD dst_unused:UNUSED_PAD src0_sel:DWORD src1_sel:BYTE_3
	v_lshlrev_b16_sdwa v229, v213, v137 dst_sel:DWORD dst_unused:UNUSED_PAD src0_sel:DWORD src1_sel:BYTE_3
	v_lshlrev_b16_e32 v118, 8, v159
	v_cndmask_b32_e64 v134, v209, v134, s[34:35]
	v_cndmask_b32_e64 v128, v209, v128, s[30:31]
	.loc	1 74 33                         ; fp8_utils_aot.py:74:33
	v_perm_b32 v137, v122, v120, s0
	v_and_b32_e32 v120, 0xffff8000, v176
	v_and_b32_e32 v122, 0xffff8000, v180
	.loc	1 0 0 is_stmt 0                 ; fp8_utils_aot.py:0
	v_lshrrev_b32_e32 v231, 8, v135
	.loc	1 66 20 is_stmt 1               ; fp8_utils_aot.py:66:20
	v_lshlrev_b16_e32 v234, 8, v135
	v_lshlrev_b16_e32 v235, 7, v135
	v_and_b32_e32 v236, 0x7f, v135
	v_lshlrev_b16_sdwa v237, v211, v135 dst_sel:DWORD dst_unused:UNUSED_PAD src0_sel:DWORD src1_sel:WORD_1
	v_lshlrev_b16_sdwa v238, v213, v135 dst_sel:DWORD dst_unused:UNUSED_PAD src0_sel:DWORD src1_sel:WORD_1
	v_and_b32_sdwa v239, v135, s33 dst_sel:DWORD dst_unused:UNUSED_PAD src0_sel:WORD_1 src1_sel:DWORD
	v_lshlrev_b16_sdwa v240, v211, v135 dst_sel:DWORD dst_unused:UNUSED_PAD src0_sel:DWORD src1_sel:BYTE_3
	v_lshlrev_b16_sdwa v241, v213, v135 dst_sel:DWORD dst_unused:UNUSED_PAD src0_sel:DWORD src1_sel:BYTE_3
	v_and_b32_sdwa v242, v135, s33 dst_sel:DWORD dst_unused:UNUSED_PAD src0_sel:BYTE_3 src1_sel:DWORD
	.loc	1 74 33                         ; fp8_utils_aot.py:74:33
	v_and_b32_e32 v118, 0xffff8000, v118
	.loc	1 66 20                         ; fp8_utils_aot.py:66:20
	v_lshlrev_b16_e32 v135, 8, v158
	s_mov_b32 s26, 0x5040100
	.loc	1 74 33                         ; fp8_utils_aot.py:74:33
	v_or_b32_e32 v120, v128, v120
	v_or_b32_e32 v122, v134, v122
	v_and_b32_e32 v128, 0xffff8000, v172
	v_or_b32_e32 v126, v126, v118
	.loc	1 0 0 is_stmt 0                 ; fp8_utils_aot.py:0
	v_lshrrev_b32_e32 v118, 8, v133
	.loc	1 74 33                         ; fp8_utils_aot.py:74:33
	v_or_b32_e32 v128, v130, v128
	v_and_b32_e32 v130, 0xffff8000, v135
	v_perm_b32 v135, v122, v120, s26
	.loc	1 66 20 is_stmt 1               ; fp8_utils_aot.py:66:20
	v_and_b32_e32 v120, 0x7f, v231
	.loc	1 74 33                         ; fp8_utils_aot.py:74:33
	v_perm_b32 v136, v126, v124, s0
	.loc	1 66 20                         ; fp8_utils_aot.py:66:20
	v_cmp_ne_u16_e32 vcc, s33, v120
	v_cmp_ne_u16_e64 s[48:49], 0, v120
	v_cmp_ne_u16_e64 s[50:51], 1, v120
	;; [unrolled: 1-line block ×8, first 2 shown]
	v_and_b32_e32 v120, 0x7f, v118
	v_cmp_ne_u16_e64 s[2:3], 1, v120
	v_writelane_b32 v253, s2, 30
	v_writelane_b32 v253, s3, 31
	v_cmp_ne_u16_e64 s[2:3], 5, v120
	v_writelane_b32 v253, s2, 46
	v_writelane_b32 v253, s3, 47
	v_cmp_ne_u16_e64 s[2:3], 6, v120
	v_writelane_b32 v253, s2, 48
	.loc	1 74 33                         ; fp8_utils_aot.py:74:33
	v_or_b32_e32 v130, v132, v130
	.loc	1 66 20                         ; fp8_utils_aot.py:66:20
	v_cmp_ne_u16_e64 s[16:17], s33, v120
	v_cmp_ne_u16_e64 s[18:19], 0, v120
	;; [unrolled: 1-line block ×5, first 2 shown]
	v_writelane_b32 v253, s3, 49
	v_cmp_ne_u16_e64 s[2:3], 7, v120
	.loc	1 0 0 is_stmt 0                 ; fp8_utils_aot.py:0
	v_lshrrev_b32_e32 v120, 8, v131
	.loc	1 74 33 is_stmt 1               ; fp8_utils_aot.py:74:33
	v_perm_b32 v134, v130, v128, s26
	.loc	1 0 0 is_stmt 0                 ; fp8_utils_aot.py:0
	v_writelane_b32 v253, s2, 24
	.loc	1 66 20 is_stmt 1               ; fp8_utils_aot.py:66:20
	v_and_b32_e32 v128, 0x7f, v120
	.loc	1 0 0 is_stmt 0                 ; fp8_utils_aot.py:0
	v_writelane_b32 v253, s3, 25
	.loc	1 66 20                         ; fp8_utils_aot.py:66:20
	v_cmp_ne_u16_e64 s[2:3], s33, v128
	v_writelane_b32 v253, s2, 50
	v_writelane_b32 v253, s3, 51
	v_cmp_ne_u16_e64 s[2:3], 0, v128
	v_writelane_b32 v253, s2, 58
	v_writelane_b32 v253, s3, 59
	;; [unrolled: 3-line block ×8, first 2 shown]
	v_cmp_ne_u16_e64 s[2:3], 7, v128
	v_lshlrev_b16_e32 v124, 8, v133
	v_lshlrev_b16_e32 v126, 7, v133
	v_and_b32_e32 v144, 0x7f, v133
	v_lshlrev_b16_sdwa v170, v211, v133 dst_sel:DWORD dst_unused:UNUSED_PAD src0_sel:DWORD src1_sel:WORD_1
	v_lshlrev_b16_sdwa v172, v213, v133 dst_sel:DWORD dst_unused:UNUSED_PAD src0_sel:DWORD src1_sel:WORD_1
	v_and_b32_sdwa v176, v133, s33 dst_sel:DWORD dst_unused:UNUSED_PAD src0_sel:WORD_1 src1_sel:DWORD
	v_lshlrev_b16_sdwa v145, v211, v133 dst_sel:DWORD dst_unused:UNUSED_PAD src0_sel:DWORD src1_sel:BYTE_3
	v_lshlrev_b16_sdwa v168, v213, v133 dst_sel:DWORD dst_unused:UNUSED_PAD src0_sel:DWORD src1_sel:BYTE_3
	v_and_b32_sdwa v122, v133, s33 dst_sel:DWORD dst_unused:UNUSED_PAD src0_sel:BYTE_3 src1_sel:DWORD
	v_writelane_b32 v253, s2, 32
	v_and_b32_e32 v132, 0x3f80, v229
	v_and_b32_e32 v133, 0x3f80, v215
	v_writelane_b32 v253, s3, 33
	v_cmp_ne_u16_e64 s[2:3], s33, v225
	v_lshlrev_b16_e32 v128, 7, v154
	v_add_u16_e32 v132, 0x2000, v132
	v_add_u16_e32 v133, 0x2000, v133
	v_cmp_ne_u16_e64 s[4:5], 0, v225
	v_and_b32_e32 v128, 0x3f80, v128
	v_cndmask_b32_e64 v132, v193, v132, s[46:47]
	v_cndmask_b32_e64 v133, v193, v133, s[2:3]
	v_cmp_ne_u16_e64 s[6:7], 1, v225
	v_add_u16_e32 v128, 0x2000, v128
	v_cndmask_b32_e64 v132, 0, v132, s[40:41]
	v_cndmask_b32_e64 v133, 0, v133, s[4:5]
	v_cmp_ne_u16_e64 s[8:9], 2, v225
	v_cndmask_b32_e64 v128, v193, v128, s[94:95]
	v_and_b32_e32 v130, 0x3f80, v221
	v_cndmask_b32_e64 v132, v195, v132, s[60:61]
	v_cndmask_b32_e64 v133, v195, v133, s[6:7]
	v_cmp_ne_u16_e64 s[10:11], 3, v225
	v_cndmask_b32_e64 v128, 0, v128, s[66:67]
	v_add_u16_e32 v130, 0x2000, v130
	v_cndmask_b32_e64 v132, v197, v132, s[62:63]
	v_cndmask_b32_e64 v133, v197, v133, s[8:9]
	v_cmp_ne_u16_e64 s[12:13], 4, v225
	v_cndmask_b32_e64 v128, v195, v128, s[68:69]
	v_cndmask_b32_e64 v130, v193, v130, s[78:79]
	v_cndmask_b32_e64 v132, v199, v132, s[36:37]
	v_cndmask_b32_e64 v133, v199, v133, s[10:11]
	v_cmp_ne_u16_e64 s[28:29], 5, v225
	v_cndmask_b32_e64 v128, v197, v128, s[64:65]
	v_cndmask_b32_e64 v130, 0, v130, s[80:81]
	;; [unrolled: 5-line block ×3, first 2 shown]
	v_cndmask_b32_e64 v132, v205, v132, s[42:43]
	v_cndmask_b32_e64 v133, v205, v133, s[28:29]
	v_readlane_b32 s2, v253, 22
	v_cmp_ne_u16_e64 s[34:35], 7, v225
	v_cndmask_b32_e64 v128, v201, v128, s[72:73]
	v_cndmask_b32_e64 v130, v197, v130, s[84:85]
	v_cndmask_b32_e64 v132, v207, v132, s[44:45]
	v_cndmask_b32_e64 v133, v207, v133, s[30:31]
	v_readlane_b32 s3, v253, 23
	v_cndmask_b32_e64 v128, v205, v128, s[74:75]
	v_cndmask_b32_e64 v130, v199, v130, s[86:87]
	;; [unrolled: 1-line block ×3, first 2 shown]
	.loc	1 74 33 is_stmt 1               ; fp8_utils_aot.py:74:33
	v_and_b32_e32 v148, 0xffff8000, v166
	.loc	1 66 20                         ; fp8_utils_aot.py:66:20
	v_cndmask_b32_e64 v132, v209, v132, s[2:3]
	v_readlane_b32 s2, v253, 60
	v_cndmask_b32_e64 v128, v207, v128, s[76:77]
	v_cndmask_b32_e64 v130, v201, v130, s[88:89]
	.loc	1 74 33                         ; fp8_utils_aot.py:74:33
	v_or_b32_e32 v133, v133, v148
	v_and_b32_e32 v148, 0xffff8000, v227
	.loc	1 66 20                         ; fp8_utils_aot.py:66:20
	v_readlane_b32 s3, v253, 61
	v_cndmask_b32_e64 v130, v205, v130, s[90:91]
	.loc	1 74 33                         ; fp8_utils_aot.py:74:33
	v_or_b32_e32 v148, v132, v148
	.loc	1 66 20                         ; fp8_utils_aot.py:66:20
	v_lshlrev_b16_e32 v132, 8, v154
	v_cndmask_b32_e64 v154, v209, v128, s[2:3]
	v_readlane_b32 s2, v253, 62
	v_cndmask_b32_e64 v130, v207, v130, s[92:93]
	v_readlane_b32 s3, v253, 63
	v_cndmask_b32_e64 v128, v209, v130, s[2:3]
	.loc	1 74 33                         ; fp8_utils_aot.py:74:33
	v_and_b32_e32 v130, 0xffff8000, v223
	v_and_b32_e32 v132, 0xffff8000, v132
	v_or_b32_e32 v130, v128, v130
	v_or_b32_e32 v132, v154, v132
	v_perm_b32 v132, v132, v130, s26
	.loc	1 66 20                         ; fp8_utils_aot.py:66:20
	v_lshlrev_b16_e32 v130, 7, v231
	v_and_b32_e32 v130, 0x3f80, v130
	v_and_b32_e32 v149, 0x7f, v131
	v_add_u16_e32 v130, 0x2000, v130
	.loc	1 74 33                         ; fp8_utils_aot.py:74:33
	v_perm_b32 v133, v148, v133, s26
	.loc	1 66 20                         ; fp8_utils_aot.py:66:20
	v_cmp_ne_u16_e64 s[46:47], s33, v149
	v_cmp_ne_u16_e64 s[12:13], 0, v149
	;; [unrolled: 1-line block ×9, first 2 shown]
	v_cndmask_b32_e32 v130, v193, v130, vcc
	v_and_b32_e32 v149, 0x3f80, v241
	v_cndmask_b32_e64 v130, 0, v130, s[48:49]
	v_add_u16_e32 v149, 0x2000, v149
	v_cmp_ne_u16_e32 vcc, s33, v242
	v_cndmask_b32_e64 v130, v195, v130, s[50:51]
	v_cndmask_b32_e32 v149, v193, v149, vcc
	v_cmp_ne_u16_e32 vcc, 0, v242
	v_cndmask_b32_e64 v130, v197, v130, s[52:53]
	v_cndmask_b32_e32 v149, 0, v149, vcc
	;; [unrolled: 3-line block ×4, first 2 shown]
	v_cmp_ne_u16_e32 vcc, 3, v242
	v_lshlrev_b16_e32 v155, 7, v131
	v_lshlrev_b16_e32 v128, 8, v131
	v_lshlrev_b16_sdwa v159, v211, v131 dst_sel:DWORD dst_unused:UNUSED_PAD src0_sel:DWORD src1_sel:WORD_1
	v_lshlrev_b16_sdwa v164, v213, v131 dst_sel:DWORD dst_unused:UNUSED_PAD src0_sel:DWORD src1_sel:WORD_1
	v_and_b32_sdwa v166, v131, s33 dst_sel:DWORD dst_unused:UNUSED_PAD src0_sel:WORD_1 src1_sel:DWORD
	v_lshlrev_b16_sdwa v158, v211, v131 dst_sel:DWORD dst_unused:UNUSED_PAD src0_sel:DWORD src1_sel:BYTE_3
	v_lshlrev_b16_sdwa v178, v213, v131 dst_sel:DWORD dst_unused:UNUSED_PAD src0_sel:DWORD src1_sel:BYTE_3
	v_and_b32_sdwa v180, v131, s33 dst_sel:DWORD dst_unused:UNUSED_PAD src0_sel:BYTE_3 src1_sel:DWORD
	v_cndmask_b32_e64 v130, v205, v130, s[58:59]
	v_and_b32_e32 v131, 0x3f80, v238
	v_cndmask_b32_e32 v149, v199, v149, vcc
	v_cmp_ne_u16_e32 vcc, 4, v242
	v_cmp_ne_u16_e64 s[28:29], s33, v239
	v_cndmask_b32_e64 v130, v207, v130, s[0:1]
	v_add_u16_e32 v131, 0x2000, v131
	v_cmp_ne_u16_e64 s[0:1], 5, v242
	v_cndmask_b32_e32 v149, v201, v149, vcc
	v_cmp_ne_u16_e64 s[30:31], 0, v239
	v_cndmask_b32_e64 v131, v193, v131, s[28:29]
	v_cmp_ne_u16_e64 s[28:29], 6, v242
	v_cndmask_b32_e64 v149, v205, v149, s[0:1]
	v_cndmask_b32_e64 v131, 0, v131, s[30:31]
	v_cmp_ne_u16_e64 s[30:31], 7, v242
	v_cndmask_b32_e64 v149, v207, v149, s[28:29]
	v_cndmask_b32_e64 v149, v209, v149, s[30:31]
	.loc	1 74 33                         ; fp8_utils_aot.py:74:33
	v_and_b32_e32 v154, 0xffff8000, v240
	v_or_b32_e32 v154, v149, v154
	.loc	1 66 20                         ; fp8_utils_aot.py:66:20
	v_and_b32_e32 v149, 0x3f80, v235
	v_add_u16_e32 v149, 0x2000, v149
	v_cmp_ne_u16_e32 vcc, s33, v236
	v_cndmask_b32_e32 v149, v193, v149, vcc
	v_cmp_ne_u16_e32 vcc, 0, v236
	v_cmp_ne_u16_e64 s[34:35], 1, v239
	v_cndmask_b32_e32 v149, 0, v149, vcc
	v_cmp_ne_u16_e32 vcc, 1, v236
	v_cmp_ne_u16_e64 s[36:37], 2, v239
	v_cndmask_b32_e64 v131, v195, v131, s[34:35]
	v_cndmask_b32_e32 v149, v195, v149, vcc
	v_cmp_ne_u16_e32 vcc, 2, v236
	v_cmp_ne_u16_e64 s[38:39], 3, v239
	v_cndmask_b32_e64 v131, v197, v131, s[36:37]
	;; [unrolled: 4-line block ×4, first 2 shown]
	v_cmp_ne_u16_e64 s[0:1], 5, v236
	v_cndmask_b32_e32 v163, v201, v163, vcc
	v_cmp_ne_u16_e64 s[44:45], 6, v239
	v_cndmask_b32_e64 v131, v205, v131, s[42:43]
	v_cmp_ne_u16_e64 s[28:29], 6, v236
	v_cndmask_b32_e64 v163, v205, v163, s[0:1]
	;; [unrolled: 2-line block ×4, first 2 shown]
	v_lshlrev_b16_e32 v221, 8, v231
	v_writelane_b32 v253, s26, 22
	v_cndmask_b32_e64 v131, v209, v131, s[62:63]
	.loc	1 74 33                         ; fp8_utils_aot.py:74:33
	v_and_b32_e32 v148, 0xffff8000, v237
	.loc	1 66 20                         ; fp8_utils_aot.py:66:20
	v_cndmask_b32_e64 v163, v209, v163, s[30:31]
	.loc	1 74 33                         ; fp8_utils_aot.py:74:33
	v_and_b32_e32 v219, 0xffff8000, v234
	.loc	1 66 20                         ; fp8_utils_aot.py:66:20
	;; [unrolled: 4-line block ×3, first 2 shown]
	v_writelane_b32 v253, s27, 23
	.loc	1 74 33                         ; fp8_utils_aot.py:74:33
	v_or_b32_e32 v131, v131, v148
	.loc	1 0 0 is_stmt 0                 ; fp8_utils_aot.py:0
	v_lshrrev_b32_e32 v148, 8, v129
	.loc	1 74 33                         ; fp8_utils_aot.py:74:33
	v_or_b32_e32 v219, v163, v219
	v_or_b32_e32 v130, v130, v221
	s_mov_b32 s0, 0x5040100
	.loc	1 66 20 is_stmt 1               ; fp8_utils_aot.py:66:20
	v_cmp_ne_u16_e64 s[14:15], 7, v180
	.loc	1 74 33                         ; fp8_utils_aot.py:74:33
	v_perm_b32 v130, v130, v219, s0
	v_perm_b32 v131, v154, v131, s0
	.loc	1 66 20                         ; fp8_utils_aot.py:66:20
	v_cmp_ne_u16_e32 vcc, s33, v180
	v_cmp_ne_u16_e64 s[0:1], 0, v180
	v_cmp_ne_u16_e64 s[28:29], 1, v180
	;; [unrolled: 1-line block ×7, first 2 shown]
	v_writelane_b32 v253, s14, 28
	v_and_b32_e32 v180, 0x7f, v148
	v_writelane_b32 v253, s15, 29
	v_cmp_ne_u16_e64 s[14:15], 2, v180
	v_writelane_b32 v253, s14, 60
	v_cmp_ne_u16_e64 s[76:77], s33, v180
	v_cmp_ne_u16_e64 s[90:91], 0, v180
	;; [unrolled: 1-line block ×3, first 2 shown]
	v_writelane_b32 v253, s15, 61
	v_cmp_ne_u16_e64 s[54:55], 3, v180
	v_cmp_ne_u16_e64 s[56:57], 4, v180
	v_cmp_ne_u16_e64 s[58:59], 5, v180
	v_cmp_ne_u16_e64 s[66:67], 6, v180
	v_cmp_ne_u16_e64 s[14:15], 7, v180
	v_lshlrev_b16_e32 v180, 7, v118
	v_writelane_b32 v253, s14, 26
	v_and_b32_e32 v180, 0x3f80, v180
	v_writelane_b32 v253, s15, 27
	v_add_u16_e32 v180, 0x2000, v180
	v_cndmask_b32_e64 v180, v193, v180, s[16:17]
	v_readlane_b32 s14, v253, 30
	v_cndmask_b32_e64 v180, 0, v180, s[18:19]
	v_readlane_b32 s15, v253, 31
	v_cndmask_b32_e64 v180, v195, v180, s[14:15]
	v_cndmask_b32_e64 v180, v197, v180, s[20:21]
	;; [unrolled: 1-line block ×3, first 2 shown]
	v_readlane_b32 s14, v253, 46
	v_cndmask_b32_e64 v180, v201, v180, s[24:25]
	v_readlane_b32 s15, v253, 47
	v_cndmask_b32_e64 v180, v205, v180, s[14:15]
	v_readlane_b32 s14, v253, 48
	v_and_b32_e32 v217, 0x7f, v129
	v_readlane_b32 s15, v253, 49
	v_cndmask_b32_e64 v180, v207, v180, s[14:15]
	v_cmp_ne_u16_e64 s[14:15], 7, v217
	v_lshlrev_b16_e32 v215, 7, v129
	v_writelane_b32 v253, s14, 30
	v_and_b32_e32 v155, 0x3f80, v155
	v_cmp_ne_u16_e64 s[44:45], s33, v217
	v_cmp_ne_u16_e64 s[64:65], 0, v217
	;; [unrolled: 1-line block ×8, first 2 shown]
	v_writelane_b32 v253, s15, 31
	v_lshlrev_b16_e32 v217, 7, v120
	v_add_u16_e32 v155, 0x2000, v155
	v_and_b32_e32 v215, 0x3f80, v215
	v_and_b32_e32 v217, 0x3f80, v217
	v_readlane_b32 s14, v253, 50
	v_cndmask_b32_e64 v155, v193, v155, s[46:47]
	v_add_u16_e32 v215, 0x2000, v215
	v_add_u16_e32 v217, 0x2000, v217
	v_readlane_b32 s15, v253, 51
	v_cndmask_b32_e64 v155, 0, v155, s[12:13]
	v_cndmask_b32_e64 v215, v193, v215, s[44:45]
	v_cndmask_b32_e64 v217, v193, v217, s[14:15]
	v_readlane_b32 s14, v253, 58
	v_cndmask_b32_e64 v155, v195, v155, s[2:3]
	v_cndmask_b32_e64 v215, 0, v215, s[64:65]
	v_readlane_b32 s15, v253, 59
	v_cndmask_b32_e64 v155, v197, v155, s[4:5]
	v_cndmask_b32_e64 v215, v195, v215, s[78:79]
	v_cndmask_b32_e64 v217, 0, v217, s[14:15]
	v_readlane_b32 s14, v253, 34
	v_cndmask_b32_e64 v155, v199, v155, s[6:7]
	v_cndmask_b32_e64 v215, v197, v215, s[80:81]
	;; [unrolled: 7-line block ×3, first 2 shown]
	v_lshlrev_b16_sdwa v223, v213, v129 dst_sel:DWORD dst_unused:UNUSED_PAD src0_sel:DWORD src1_sel:BYTE_3
	v_readlane_b32 s15, v253, 37
	v_cndmask_b32_e64 v227, v207, v155, s[60:61]
	v_and_b32_e32 v155, 0x3f80, v178
	v_cndmask_b32_e64 v215, v205, v215, s[86:87]
	v_lshlrev_b16_e32 v149, 8, v129
	v_lshlrev_b16_sdwa v163, v211, v129 dst_sel:DWORD dst_unused:UNUSED_PAD src0_sel:DWORD src1_sel:WORD_1
	v_lshlrev_b16_sdwa v221, v213, v129 dst_sel:DWORD dst_unused:UNUSED_PAD src0_sel:DWORD src1_sel:WORD_1
	v_and_b32_sdwa v219, v129, s33 dst_sel:DWORD dst_unused:UNUSED_PAD src0_sel:WORD_1 src1_sel:DWORD
	v_lshlrev_b16_sdwa v154, v211, v129 dst_sel:DWORD dst_unused:UNUSED_PAD src0_sel:DWORD src1_sel:BYTE_3
	v_and_b32_sdwa v129, v129, s33 dst_sel:DWORD dst_unused:UNUSED_PAD src0_sel:BYTE_3 src1_sel:DWORD
	v_cndmask_b32_e64 v217, v197, v217, s[14:15]
	v_readlane_b32 s14, v253, 38
	v_add_u16_e32 v155, 0x2000, v155
	v_cndmask_b32_e64 v229, v207, v215, s[88:89]
	v_and_b32_e32 v215, 0x3f80, v223
	v_readlane_b32 s15, v253, 39
	v_cndmask_b32_e32 v155, v193, v155, vcc
	v_cmp_ne_u16_e64 s[16:17], s33, v129
	v_add_u16_e32 v215, 0x2000, v215
	v_cndmask_b32_e64 v217, v199, v217, s[14:15]
	v_readlane_b32 s14, v253, 40
	v_cndmask_b32_e64 v155, 0, v155, s[0:1]
	v_cmp_ne_u16_e64 s[18:19], 0, v129
	v_cndmask_b32_e64 v215, v193, v215, s[16:17]
	v_readlane_b32 s15, v253, 41
	v_cndmask_b32_e64 v155, v195, v155, s[28:29]
	v_cmp_ne_u16_e64 s[68:69], 1, v129
	v_cndmask_b32_e64 v215, 0, v215, s[18:19]
	v_cndmask_b32_e64 v217, v201, v217, s[14:15]
	v_readlane_b32 s14, v253, 42
	v_cndmask_b32_e64 v155, v197, v155, s[30:31]
	v_cmp_ne_u16_e64 s[70:71], 2, v129
	v_cndmask_b32_e64 v215, v195, v215, s[68:69]
	v_readlane_b32 s15, v253, 43
	v_cndmask_b32_e64 v155, v199, v155, s[36:37]
	v_cmp_ne_u16_e64 s[72:73], 3, v129
	v_cndmask_b32_e64 v215, v197, v215, s[70:71]
	v_cndmask_b32_e64 v217, v205, v217, s[14:15]
	v_readlane_b32 s14, v253, 44
	v_cndmask_b32_e64 v155, v201, v155, s[38:39]
	v_cmp_ne_u16_e64 s[74:75], 4, v129
	v_cmp_ne_u16_e64 s[0:1], 7, v129
	v_cndmask_b32_e64 v215, v199, v215, s[72:73]
	v_readlane_b32 s15, v253, 45
	v_cndmask_b32_e64 v155, v205, v155, s[40:41]
	v_cmp_ne_u16_e64 s[94:95], 5, v129
	v_writelane_b32 v253, s0, 50
	v_cndmask_b32_e64 v215, v201, v215, s[74:75]
	v_cndmask_b32_e64 v178, v207, v155, s[42:43]
	v_cmp_ne_u16_e32 vcc, 6, v129
	v_writelane_b32 v253, s1, 51
	.loc	1 0 0 is_stmt 0                 ; fp8_utils_aot.py:0
	v_lshrrev_b32_e32 v155, 8, v116
	.loc	1 66 20                         ; fp8_utils_aot.py:66:20
	v_cmp_ne_u16_e64 s[20:21], 7, v219
	v_cndmask_b32_e64 v215, v205, v215, s[94:95]
	v_writelane_b32 v253, s20, 58
	v_and_b32_e32 v129, 0x7f, v155
	v_cndmask_b32_e32 v223, v207, v215, vcc
	v_and_b32_e32 v215, 0x3f80, v221
	v_cndmask_b32_e64 v225, v207, v217, s[14:15]
	v_cmp_ne_u16_e64 s[14:15], s33, v219
	v_writelane_b32 v253, s21, 59
	v_cmp_ne_u16_e64 s[38:39], 7, v129
	v_add_u16_e32 v215, 0x2000, v215
	v_cmp_ne_u16_e64 s[0:1], 0, v219
	v_cmp_ne_u16_e64 s[20:21], s33, v129
	;; [unrolled: 1-line block ×9, first 2 shown]
	v_writelane_b32 v253, s38, 36
	v_and_b32_e32 v129, 0x7f, v116
	v_cndmask_b32_e64 v215, v193, v215, s[14:15]
	v_cmp_ne_u16_e64 s[2:3], 1, v219
	v_writelane_b32 v253, s39, 37
	v_cmp_ne_u16_e64 s[52:53], 7, v129
	v_cndmask_b32_e64 v215, 0, v215, s[0:1]
	v_cmp_ne_u16_e64 s[4:5], 2, v219
	v_cmp_ne_u16_e64 s[50:51], s33, v129
	;; [unrolled: 1-line block ×9, first 2 shown]
	v_writelane_b32 v253, s52, 38
	v_and_b32_sdwa v129, v116, s33 dst_sel:DWORD dst_unused:UNUSED_PAD src0_sel:BYTE_3 src1_sel:DWORD
	v_cndmask_b32_e64 v215, v195, v215, s[2:3]
	v_cmp_ne_u16_e64 s[6:7], 3, v219
	v_writelane_b32 v253, s53, 39
	v_cmp_ne_u16_e64 s[52:53], s33, v129
	v_cndmask_b32_e64 v215, v197, v215, s[4:5]
	v_cmp_ne_u16_e64 s[8:9], 4, v219
	v_writelane_b32 v253, s52, 40
	v_cndmask_b32_e64 v215, v199, v215, s[6:7]
	v_and_b32_e32 v172, 0x3f80, v172
	v_cmp_ne_u16_e64 s[10:11], 5, v219
	v_writelane_b32 v253, s53, 41
	v_cmp_ne_u16_e64 s[52:53], 0, v129
	v_cndmask_b32_e64 v215, v201, v215, s[8:9]
	v_cmp_ne_u16_e32 vcc, s33, v176
	v_add_u16_e32 v172, 0x2000, v172
	v_cmp_ne_u16_e64 s[12:13], 6, v219
	v_writelane_b32 v253, s52, 42
	v_cndmask_b32_e64 v215, v205, v215, s[10:11]
	v_cmp_ne_u16_e64 s[0:1], 0, v176
	v_cndmask_b32_e32 v172, v193, v172, vcc
	v_writelane_b32 v253, s53, 43
	v_cmp_ne_u16_e64 s[52:53], 1, v129
	v_cndmask_b32_e64 v221, v207, v215, s[12:13]
	v_cmp_ne_u16_e64 s[2:3], 1, v176
	v_cmp_ne_u16_e64 s[4:5], 2, v176
	v_cmp_ne_u16_e64 s[6:7], 3, v176
	v_cmp_ne_u16_e64 s[8:9], 4, v176
	v_cmp_ne_u16_e64 s[10:11], 5, v176
	v_cmp_ne_u16_e64 s[12:13], 6, v176
	v_cmp_ne_u16_e64 s[14:15], 7, v176
	v_lshlrev_b16_e32 v176, 7, v155
	v_cndmask_b32_e64 v172, 0, v172, s[0:1]
	v_writelane_b32 v253, s52, 44
	v_and_b32_e32 v176, 0x3f80, v176
	v_cndmask_b32_e64 v172, v195, v172, s[2:3]
	v_writelane_b32 v253, s53, 45
	v_cmp_ne_u16_e64 s[52:53], 2, v129
	v_add_u16_e32 v176, 0x2000, v176
	v_cndmask_b32_e64 v172, v197, v172, s[4:5]
	v_writelane_b32 v253, s52, 46
	v_cndmask_b32_e64 v176, v193, v176, s[20:21]
	v_cndmask_b32_e64 v172, v199, v172, s[6:7]
	v_writelane_b32 v253, s53, 47
	v_cmp_ne_u16_e64 s[52:53], 3, v129
	v_cndmask_b32_e64 v176, 0, v176, s[22:23]
	v_cndmask_b32_e64 v172, v201, v172, s[8:9]
	v_writelane_b32 v253, s52, 48
	v_cndmask_b32_e64 v176, v195, v176, s[24:25]
	v_cndmask_b32_e64 v172, v205, v172, s[10:11]
	v_writelane_b32 v253, s53, 49
	v_cmp_ne_u16_e64 s[52:53], 4, v129
	v_cndmask_b32_e64 v176, v197, v176, s[26:27]
	v_cndmask_b32_e64 v172, v207, v172, s[12:13]
	v_and_b32_e32 v168, 0x3f80, v168
	v_writelane_b32 v253, s52, 52
	v_cndmask_b32_e64 v176, v199, v176, s[28:29]
	v_cndmask_b32_e64 v172, v209, v172, s[14:15]
	.loc	1 74 33 is_stmt 1               ; fp8_utils_aot.py:74:33
	v_and_b32_e32 v170, 0xffff8000, v170
	.loc	1 66 20                         ; fp8_utils_aot.py:66:20
	v_add_u16_e32 v168, 0x2000, v168
	v_cmp_ne_u16_e64 s[14:15], s33, v122
	v_writelane_b32 v253, s53, 53
	v_cmp_ne_u16_e64 s[52:53], 5, v129
	v_cndmask_b32_e64 v176, v201, v176, s[30:31]
	.loc	1 74 33                         ; fp8_utils_aot.py:74:33
	v_or_b32_e32 v170, v172, v170
	.loc	1 66 20                         ; fp8_utils_aot.py:66:20
	v_and_b32_sdwa v172, v116, s33 dst_sel:DWORD dst_unused:UNUSED_PAD src0_sel:WORD_1 src1_sel:DWORD
	v_cndmask_b32_e64 v168, v193, v168, s[14:15]
	v_cmp_ne_u16_e64 s[14:15], 0, v122
	v_writelane_b32 v253, s52, 54
	v_cndmask_b32_e64 v176, v205, v176, s[34:35]
	v_cmp_ne_u16_e32 vcc, s33, v172
	v_cmp_ne_u16_e64 s[0:1], 0, v172
	v_cmp_ne_u16_e64 s[2:3], 1, v172
	;; [unrolled: 1-line block ×8, first 2 shown]
	v_lshlrev_b16_e32 v172, 7, v116
	v_cndmask_b32_e64 v168, 0, v168, s[14:15]
	v_cmp_ne_u16_e64 s[14:15], 1, v122
	v_writelane_b32 v253, s53, 55
	v_cmp_ne_u16_e64 s[52:53], 6, v129
	v_and_b32_e32 v172, 0x3f80, v172
	v_cndmask_b32_e64 v168, v195, v168, s[14:15]
	v_cmp_ne_u16_e64 s[14:15], 2, v122
	v_writelane_b32 v253, s52, 56
	v_add_u16_e32 v172, 0x2000, v172
	v_cndmask_b32_e64 v168, v197, v168, s[14:15]
	v_cmp_ne_u16_e64 s[14:15], 3, v122
	v_writelane_b32 v253, s53, 57
	v_cmp_ne_u16_e64 s[52:53], 7, v129
	v_lshlrev_b16_e32 v129, 7, v148
	v_cndmask_b32_e64 v172, v193, v172, s[50:51]
	v_cndmask_b32_e64 v168, v199, v168, s[14:15]
	v_cmp_ne_u16_e64 s[14:15], 4, v122
	v_and_b32_e32 v129, 0x3f80, v129
	v_cndmask_b32_e64 v172, 0, v172, s[38:39]
	v_cmp_ne_u16_e64 s[16:17], 5, v122
	v_cndmask_b32_e64 v168, v201, v168, s[14:15]
	v_writelane_b32 v253, s52, 34
	v_add_u16_e32 v129, 0x2000, v129
	v_cndmask_b32_e64 v172, v195, v172, s[40:41]
	v_cmp_ne_u16_e64 s[18:19], 6, v122
	v_cndmask_b32_e64 v168, v205, v168, s[16:17]
	v_writelane_b32 v253, s53, 35
	v_cndmask_b32_e64 v129, v193, v129, s[76:77]
	v_cndmask_b32_e64 v172, v197, v172, s[42:43]
	v_cmp_ne_u16_e64 s[20:21], 7, v122
	v_cndmask_b32_e64 v168, v207, v168, s[18:19]
	v_cndmask_b32_e64 v129, 0, v129, s[90:91]
	v_readlane_b32 s52, v253, 60
	v_cndmask_b32_e64 v172, v199, v172, s[48:49]
	.loc	1 0 0 is_stmt 0                 ; fp8_utils_aot.py:0
	v_lshrrev_b32_e32 v122, 8, v114
	.loc	1 66 20                         ; fp8_utils_aot.py:66:20
	v_cndmask_b32_e64 v168, v209, v168, s[20:21]
	.loc	1 74 33 is_stmt 1               ; fp8_utils_aot.py:74:33
	v_and_b32_e32 v145, 0xffff8000, v145
	.loc	1 66 20                         ; fp8_utils_aot.py:66:20
	v_cndmask_b32_e64 v129, v195, v129, s[92:93]
	v_readlane_b32 s53, v253, 61
	v_cndmask_b32_e64 v172, v201, v172, s[46:47]
	.loc	1 74 33                         ; fp8_utils_aot.py:74:33
	v_or_b32_e32 v145, v168, v145
	.loc	1 66 20                         ; fp8_utils_aot.py:66:20
	v_and_b32_e32 v168, 0x7f, v122
	v_cndmask_b32_e64 v129, v197, v129, s[52:53]
	v_cndmask_b32_e64 v172, v205, v172, s[60:61]
	v_cmp_ne_u16_e64 s[14:15], s33, v168
	v_cmp_ne_u16_e64 s[16:17], 0, v168
	;; [unrolled: 1-line block ×9, first 2 shown]
	v_and_b32_e32 v168, 0x7f, v114
	v_cndmask_b32_e64 v176, v207, v176, s[36:37]
	v_cndmask_b32_e64 v172, v207, v172, s[62:63]
	v_cmp_ne_u16_e64 s[30:31], s33, v168
	v_cmp_ne_u16_e64 s[36:37], 0, v168
	;; [unrolled: 1-line block ×9, first 2 shown]
	v_lshlrev_b16_sdwa v168, v213, v116 dst_sel:DWORD dst_unused:UNUSED_PAD src0_sel:DWORD src1_sel:BYTE_3
	v_and_b32_e32 v168, 0x3f80, v168
	v_readlane_b32 s50, v253, 40
	v_add_u16_e32 v168, 0x2000, v168
	v_readlane_b32 s51, v253, 41
	v_cndmask_b32_e64 v168, v193, v168, s[50:51]
	v_readlane_b32 s50, v253, 42
	v_readlane_b32 s51, v253, 43
	v_cndmask_b32_e64 v168, 0, v168, s[50:51]
	v_readlane_b32 s50, v253, 44
	v_readlane_b32 s51, v253, 45
	v_cndmask_b32_e64 v168, v195, v168, s[50:51]
	v_readlane_b32 s50, v253, 46
	v_readlane_b32 s51, v253, 47
	v_cndmask_b32_e64 v168, v197, v168, s[50:51]
	v_readlane_b32 s50, v253, 48
	v_readlane_b32 s51, v253, 49
	v_cndmask_b32_e64 v168, v199, v168, s[50:51]
	v_readlane_b32 s50, v253, 52
	v_readlane_b32 s51, v253, 53
	v_cndmask_b32_e64 v168, v201, v168, s[50:51]
	v_readlane_b32 s50, v253, 54
	v_readlane_b32 s51, v253, 55
	v_cndmask_b32_e64 v168, v205, v168, s[50:51]
	v_readlane_b32 s50, v253, 56
	v_readlane_b32 s51, v253, 57
	v_and_b32_e32 v126, 0x3f80, v126
	v_cndmask_b32_e64 v129, v199, v129, s[54:55]
	v_cndmask_b32_e64 v168, v207, v168, s[50:51]
	v_cmp_ne_u16_e64 s[50:51], s33, v144
	v_add_u16_e32 v126, 0x2000, v126
	v_cndmask_b32_e64 v129, v201, v129, s[56:57]
	v_cmp_ne_u16_e64 s[54:55], 0, v144
	v_cndmask_b32_e64 v126, v193, v126, s[50:51]
	v_cndmask_b32_e64 v129, v205, v129, s[58:59]
	v_cmp_ne_u16_e64 s[56:57], 1, v144
	v_cndmask_b32_e64 v126, 0, v126, s[54:55]
	v_cndmask_b32_e64 v129, v207, v129, s[66:67]
	v_cmp_ne_u16_e64 s[58:59], 2, v144
	v_cmp_ne_u16_e64 s[60:61], 3, v144
	;; [unrolled: 1-line block ×6, first 2 shown]
	v_lshlrev_b16_sdwa v144, v213, v116 dst_sel:DWORD dst_unused:UNUSED_PAD src0_sel:DWORD src1_sel:WORD_1
	v_cndmask_b32_e64 v126, v195, v126, s[56:57]
	v_and_b32_e32 v144, 0x3f80, v144
	v_cndmask_b32_e64 v126, v197, v126, s[58:59]
	v_add_u16_e32 v144, 0x2000, v144
	v_cndmask_b32_e64 v126, v199, v126, s[60:61]
	v_cndmask_b32_e32 v144, v193, v144, vcc
	v_cndmask_b32_e64 v126, v201, v126, s[64:65]
	v_cndmask_b32_e64 v144, 0, v144, s[0:1]
	;; [unrolled: 1-line block ×7, first 2 shown]
	.loc	1 74 33                         ; fp8_utils_aot.py:74:33
	v_and_b32_e32 v124, 0xffff8000, v124
	.loc	1 66 20                         ; fp8_utils_aot.py:66:20
	v_cndmask_b32_e64 v144, v199, v144, s[6:7]
	.loc	1 74 33                         ; fp8_utils_aot.py:74:33
	v_or_b32_e32 v126, v126, v124
	.loc	1 66 20                         ; fp8_utils_aot.py:66:20
	v_and_b32_sdwa v124, v114, s33 dst_sel:DWORD dst_unused:UNUSED_PAD src0_sel:BYTE_3 src1_sel:DWORD
	v_cndmask_b32_e64 v144, v201, v144, s[8:9]
	v_cmp_ne_u16_e32 vcc, s33, v124
	v_cmp_ne_u16_e64 s[6:7], 0, v124
	v_cmp_ne_u16_e64 s[8:9], 1, v124
	;; [unrolled: 1-line block ×8, first 2 shown]
	v_lshlrev_b16_e32 v124, 7, v122
	v_and_b32_e32 v124, 0x3f80, v124
	v_add_u16_e32 v124, 0x2000, v124
	v_cndmask_b32_e64 v124, v193, v124, s[14:15]
	v_cndmask_b32_e64 v124, 0, v124, s[16:17]
	;; [unrolled: 1-line block ×6, first 2 shown]
	v_readlane_b32 s0, v253, 24
	v_cndmask_b32_e64 v124, v205, v124, s[26:27]
	v_lshlrev_b16_e32 v118, 8, v118
	v_readlane_b32 s1, v253, 25
	v_cndmask_b32_e64 v236, v207, v124, s[28:29]
	v_cndmask_b32_e64 v124, v209, v180, s[0:1]
	.loc	1 74 33                         ; fp8_utils_aot.py:74:33
	v_and_b32_e32 v118, 0xffff8000, v118
	v_or_b32_e32 v118, v124, v118
	.loc	1 66 20                         ; fp8_utils_aot.py:66:20
	v_and_b32_sdwa v124, v114, s33 dst_sel:DWORD dst_unused:UNUSED_PAD src0_sel:WORD_1 src1_sel:DWORD
	v_cmp_ne_u16_e64 s[14:15], s33, v124
	v_cmp_ne_u16_e64 s[16:17], 0, v124
	;; [unrolled: 1-line block ×9, first 2 shown]
	v_lshlrev_b16_e32 v124, 7, v114
	v_and_b32_e32 v124, 0x3f80, v124
	v_add_u16_e32 v124, 0x2000, v124
	v_cndmask_b32_e64 v124, v193, v124, s[30:31]
	v_cndmask_b32_e64 v124, 0, v124, s[36:37]
	;; [unrolled: 1-line block ×6, first 2 shown]
	s_mov_b32 s0, 0x5040100
	v_cndmask_b32_e64 v234, v207, v144, s[12:13]
	v_cndmask_b32_e64 v124, v201, v124, s[44:45]
	.loc	1 74 33                         ; fp8_utils_aot.py:74:33
	v_perm_b32 v144, v118, v126, s0
	.loc	1 0 0 is_stmt 0                 ; fp8_utils_aot.py:0
	v_lshrrev_b32_e32 v118, 8, v112
	.loc	1 66 20 is_stmt 1               ; fp8_utils_aot.py:66:20
	v_cndmask_b32_e64 v124, v205, v124, s[46:47]
	v_and_b32_e32 v126, 0x7f, v118
	v_cndmask_b32_e64 v124, v207, v124, s[48:49]
	.loc	1 74 33                         ; fp8_utils_aot.py:74:33
	v_perm_b32 v145, v145, v170, s0
	.loc	1 66 20                         ; fp8_utils_aot.py:66:20
	v_cmp_ne_u16_e64 s[60:61], s33, v126
	v_cmp_ne_u16_e64 s[58:59], 0, v126
	;; [unrolled: 1-line block ×9, first 2 shown]
	v_lshlrev_b16_sdwa v126, v213, v114 dst_sel:DWORD dst_unused:UNUSED_PAD src0_sel:DWORD src1_sel:BYTE_3
	v_and_b32_e32 v126, 0x3f80, v126
	v_add_u16_e32 v126, 0x2000, v126
	v_and_b32_e32 v164, 0x3f80, v164
	v_cndmask_b32_e32 v126, v193, v126, vcc
	v_cmp_ne_u16_e32 vcc, s33, v166
	v_add_u16_e32 v164, 0x2000, v164
	v_cndmask_b32_e64 v126, 0, v126, s[6:7]
	v_cmp_ne_u16_e64 s[6:7], 0, v166
	v_cndmask_b32_e32 v164, v193, v164, vcc
	v_cndmask_b32_e64 v126, v195, v126, s[8:9]
	v_cmp_ne_u16_e64 s[8:9], 1, v166
	v_cmp_ne_u16_e64 s[30:31], 2, v166
	;; [unrolled: 1-line block ×7, first 2 shown]
	v_lshlrev_b16_sdwa v166, v213, v114 dst_sel:DWORD dst_unused:UNUSED_PAD src0_sel:DWORD src1_sel:WORD_1
	v_cndmask_b32_e64 v164, 0, v164, s[6:7]
	v_and_b32_e32 v166, 0x3f80, v166
	v_cndmask_b32_e64 v164, v195, v164, s[8:9]
	v_add_u16_e32 v166, 0x2000, v166
	v_cndmask_b32_e64 v164, v197, v164, s[30:31]
	v_cndmask_b32_e64 v166, v193, v166, s[14:15]
	;; [unrolled: 1-line block ×12, first 2 shown]
	.loc	1 74 33                         ; fp8_utils_aot.py:74:33
	v_and_b32_e32 v159, 0xffff8000, v159
	.loc	1 66 20                         ; fp8_utils_aot.py:66:20
	v_cndmask_b32_e64 v126, v199, v126, s[56:57]
	v_cndmask_b32_e64 v166, v201, v166, s[24:25]
	.loc	1 74 33                         ; fp8_utils_aot.py:74:33
	v_or_b32_e32 v159, v164, v159
	.loc	1 66 20                         ; fp8_utils_aot.py:66:20
	v_and_b32_sdwa v164, v112, s33 dst_sel:DWORD dst_unused:UNUSED_PAD src0_sel:BYTE_3 src1_sel:DWORD
	v_cndmask_b32_e64 v126, v201, v126, s[68:69]
	v_cndmask_b32_e64 v166, v205, v166, s[26:27]
	v_cmp_ne_u16_e32 vcc, s33, v164
	v_cmp_ne_u16_e64 s[6:7], 0, v164
	v_cmp_ne_u16_e64 s[8:9], 1, v164
	;; [unrolled: 1-line block ×8, first 2 shown]
	v_and_b32_sdwa v164, v112, s33 dst_sel:DWORD dst_unused:UNUSED_PAD src0_sel:WORD_1 src1_sel:DWORD
	v_cndmask_b32_e64 v126, v205, v126, s[70:71]
	v_cndmask_b32_e64 v217, v207, v166, s[28:29]
	v_cmp_ne_u16_e64 s[24:25], s33, v164
	v_cmp_ne_u16_e64 s[26:27], 0, v164
	;; [unrolled: 1-line block ×9, first 2 shown]
	v_lshlrev_b16_sdwa v164, v213, v112 dst_sel:DWORD dst_unused:UNUSED_PAD src0_sel:DWORD src1_sel:BYTE_3
	v_and_b32_e32 v164, 0x3f80, v164
	v_add_u16_e32 v164, 0x2000, v164
	v_cndmask_b32_e32 v164, v193, v164, vcc
	v_cndmask_b32_e64 v164, 0, v164, s[6:7]
	v_cndmask_b32_e64 v164, v195, v164, s[8:9]
	;; [unrolled: 1-line block ×5, first 2 shown]
	v_readlane_b32 s6, v253, 28
	v_cndmask_b32_e64 v164, v205, v164, s[20:21]
	v_readlane_b32 s7, v253, 29
	v_cndmask_b32_e64 v215, v207, v164, s[22:23]
	v_cndmask_b32_e64 v164, v209, v178, s[6:7]
	v_readlane_b32 s6, v253, 22
	v_readlane_b32 s7, v253, 23
	v_cndmask_b32_e64 v166, v209, v227, s[6:7]
	.loc	1 74 33                         ; fp8_utils_aot.py:74:33
	v_and_b32_e32 v128, 0xffff8000, v128
	v_or_b32_e32 v128, v166, v128
	.loc	1 66 20                         ; fp8_utils_aot.py:66:20
	v_lshlrev_b16_sdwa v166, v213, v112 dst_sel:DWORD dst_unused:UNUSED_PAD src0_sel:DWORD src1_sel:WORD_1
	v_and_b32_e32 v166, 0x3f80, v166
	v_add_u16_e32 v166, 0x2000, v166
	v_cndmask_b32_e64 v166, v193, v166, s[24:25]
	v_cndmask_b32_e64 v166, 0, v166, s[26:27]
	;; [unrolled: 1-line block ×6, first 2 shown]
	v_readlane_b32 s6, v253, 32
	v_cndmask_b32_e64 v166, v205, v166, s[40:41]
	v_readlane_b32 s7, v253, 33
	v_cndmask_b32_e64 v219, v207, v166, s[42:43]
	v_cndmask_b32_e64 v166, v209, v225, s[6:7]
	v_readlane_b32 s6, v253, 26
	v_readlane_b32 s7, v253, 27
	v_cndmask_b32_e64 v227, v209, v129, s[6:7]
	v_readlane_b32 s6, v253, 30
	v_readlane_b32 s7, v253, 31
	;; [unrolled: 3-line block ×3, first 2 shown]
	v_cndmask_b32_e64 v239, v209, v223, s[6:7]
	v_readlane_b32 s6, v253, 58
	.loc	1 74 33                         ; fp8_utils_aot.py:74:33
	v_and_b32_e32 v158, 0xffff8000, v158
	.loc	1 66 20                         ; fp8_utils_aot.py:66:20
	v_readlane_b32 s7, v253, 59
	.loc	1 74 33                         ; fp8_utils_aot.py:74:33
	v_or_b32_e32 v164, v164, v158
	.loc	1 67 20                         ; fp8_utils_aot.py:67:20
	ds_read_u8 v158, v162 offset:5504
	.loc	1 66 20                         ; fp8_utils_aot.py:66:20
	v_lshlrev_b16_e32 v120, 8, v120
	v_cndmask_b32_e64 v170, v209, v221, s[6:7]
	v_readlane_b32 s6, v253, 36
	.loc	1 74 33                         ; fp8_utils_aot.py:74:33
	v_and_b32_e32 v120, 0xffff8000, v120
	.loc	1 66 20                         ; fp8_utils_aot.py:66:20
	v_readlane_b32 s7, v253, 37
	s_mov_b32 s46, 0x5040100
	.loc	1 74 33                         ; fp8_utils_aot.py:74:33
	v_or_b32_e32 v166, v166, v120
	.loc	1 0 0 is_stmt 0                 ; fp8_utils_aot.py:0
	v_lshrrev_b32_e32 v120, 8, v127
	.loc	1 66 20 is_stmt 1               ; fp8_utils_aot.py:66:20
	v_cndmask_b32_e64 v225, v209, v176, s[6:7]
	v_readlane_b32 s6, v253, 38
	v_lshlrev_b16_e32 v148, 8, v148
	v_readlane_b32 s7, v253, 39
	.loc	1 74 33                         ; fp8_utils_aot.py:74:33
	v_perm_b32 v129, v164, v159, s46
	.loc	1 66 20                         ; fp8_utils_aot.py:66:20
	v_and_b32_e32 v159, 0x7f, v120
	.loc	1 74 33                         ; fp8_utils_aot.py:74:33
	v_and_b32_e32 v148, 0xffff8000, v148
	.loc	1 66 20                         ; fp8_utils_aot.py:66:20
	v_cndmask_b32_e64 v126, v207, v126, s[72:73]
	v_cndmask_b32_e64 v229, v209, v172, s[6:7]
	v_cmp_ne_u16_e64 s[6:7], s33, v159
	v_cmp_ne_u16_e64 s[80:81], 0, v159
	;; [unrolled: 1-line block ×9, first 2 shown]
	v_and_b32_e32 v159, 0x7f, v127
	.loc	1 74 33                         ; fp8_utils_aot.py:74:33
	v_and_b32_e32 v163, 0xffff8000, v163
	v_or_b32_e32 v148, v227, v148
	.loc	1 66 20                         ; fp8_utils_aot.py:66:20
	v_lshlrev_b16_e32 v227, 8, v127
	.loc	1 74 33                         ; fp8_utils_aot.py:74:33
	v_perm_b32 v128, v166, v128, s46
	.loc	1 66 20                         ; fp8_utils_aot.py:66:20
	v_cmp_ne_u16_e64 s[78:79], s33, v159
	v_cmp_ne_u16_e64 s[82:83], 0, v159
	;; [unrolled: 1-line block ×9, first 2 shown]
	.loc	1 74 33                         ; fp8_utils_aot.py:74:33
	v_or_b32_e32 v241, v170, v163
	v_and_b32_e32 v176, 0xffff8000, v227
	.loc	1 67 20                         ; fp8_utils_aot.py:67:20
	ds_read_u8 v227, v162 offset:11392
	ds_read_u8 v163, v162 offset:5120
	s_waitcnt lgkmcnt(2)
	v_lshlrev_b16_e32 v159, 7, v158
	v_and_b32_e32 v159, 0x3f80, v159
	v_and_b32_e32 v223, 0x7f, v158
	v_add_u16_e32 v159, 0x2000, v159
	v_cmp_ne_u16_e32 vcc, s33, v223
	v_cndmask_b32_e32 v159, v193, v159, vcc
	v_cmp_ne_u16_e32 vcc, 0, v223
	v_cndmask_b32_e32 v159, 0, v159, vcc
	v_cmp_ne_u16_e32 vcc, 1, v223
	v_cndmask_b32_e32 v159, v195, v159, vcc
	v_cmp_ne_u16_e32 vcc, 2, v223
	v_cndmask_b32_e32 v159, v197, v159, vcc
	v_cmp_ne_u16_e32 vcc, 3, v223
	v_cndmask_b32_e32 v159, v199, v159, vcc
	v_cmp_ne_u16_e32 vcc, 4, v223
	.loc	1 66 20                         ; fp8_utils_aot.py:66:20
	v_readlane_b32 s14, v253, 34
	.loc	1 67 20                         ; fp8_utils_aot.py:67:20
	v_cndmask_b32_e32 v159, v201, v159, vcc
	v_cmp_ne_u16_e32 vcc, 5, v223
	.loc	1 66 20                         ; fp8_utils_aot.py:66:20
	v_readlane_b32 s15, v253, 35
	.loc	1 67 20                         ; fp8_utils_aot.py:67:20
	v_cndmask_b32_e32 v159, v205, v159, vcc
	v_cmp_ne_u16_e32 vcc, 6, v223
	s_waitcnt lgkmcnt(0)
	v_and_b32_e32 v164, 0x7f, v163
	.loc	1 66 20                         ; fp8_utils_aot.py:66:20
	v_cndmask_b32_e64 v235, v209, v168, s[14:15]
	.loc	1 67 20                         ; fp8_utils_aot.py:67:20
	v_cndmask_b32_e32 v159, v207, v159, vcc
	v_cmp_ne_u16_e32 vcc, s33, v164
	v_cmp_ne_u16_e64 s[14:15], 0, v164
	v_cmp_ne_u16_e64 s[16:17], 1, v164
	;; [unrolled: 1-line block ×8, first 2 shown]
	v_lshlrev_b16_e32 v164, 7, v163
	v_and_b32_e32 v164, 0x3f80, v164
	v_add_u16_e32 v164, 0x2000, v164
	.loc	1 74 33                         ; fp8_utils_aot.py:74:33
	v_and_b32_e32 v154, 0xffff8000, v154
	.loc	1 67 20                         ; fp8_utils_aot.py:67:20
	v_cndmask_b32_e32 v164, v193, v164, vcc
	.loc	1 74 33                         ; fp8_utils_aot.py:74:33
	v_and_b32_e32 v149, 0xffff8000, v149
	v_or_b32_e32 v154, v239, v154
	.loc	1 67 20                         ; fp8_utils_aot.py:67:20
	v_cndmask_b32_e64 v164, 0, v164, s[14:15]
	.loc	1 74 33                         ; fp8_utils_aot.py:74:33
	v_or_b32_e32 v149, v231, v149
	s_mov_b32 s14, 0x5040100
	v_perm_b32 v148, v148, v149, s14
	v_perm_b32 v149, v154, v241, s14
	.loc	1 66 20                         ; fp8_utils_aot.py:66:20
	v_lshlrev_b16_sdwa v154, v211, v116 dst_sel:DWORD dst_unused:UNUSED_PAD src0_sel:DWORD src1_sel:WORD_1
	v_cndmask_b32_e64 v237, v209, v234, s[34:35]
	v_lshlrev_b16_e32 v166, 8, v116
	.loc	1 74 33                         ; fp8_utils_aot.py:74:33
	v_and_b32_e32 v154, 0xffff8000, v154
	.loc	1 67 20                         ; fp8_utils_aot.py:67:20
	v_cndmask_b32_e64 v164, v195, v164, s[16:17]
	.loc	1 74 33                         ; fp8_utils_aot.py:74:33
	v_or_b32_e32 v168, v237, v154
	v_and_b32_e32 v154, 0xffff8000, v166
	.loc	1 67 20                         ; fp8_utils_aot.py:67:20
	ds_read_u8 v166, v162 offset:5248
	ds_read_u8 v241, v162 offset:5376
	;; [unrolled: 1-line block ×3, first 2 shown]
	v_cndmask_b32_e64 v164, v197, v164, s[18:19]
	v_cndmask_b32_e64 v164, v199, v164, s[20:21]
	.loc	1 66 20                         ; fp8_utils_aot.py:66:20
	v_lshlrev_b16_e32 v155, 8, v155
	v_lshlrev_b16_sdwa v116, v211, v116 dst_sel:DWORD dst_unused:UNUSED_PAD src0_sel:DWORD src1_sel:BYTE_3
	.loc	1 67 20                         ; fp8_utils_aot.py:67:20
	v_cndmask_b32_e64 v164, v201, v164, s[22:23]
	.loc	1 74 33                         ; fp8_utils_aot.py:74:33
	v_and_b32_e32 v116, 0xffff8000, v116
	v_and_b32_e32 v155, 0xffff8000, v155
	.loc	1 67 20                         ; fp8_utils_aot.py:67:20
	v_cndmask_b32_e64 v164, v205, v164, s[24:25]
	.loc	1 74 33                         ; fp8_utils_aot.py:74:33
	v_or_b32_e32 v116, v235, v116
	v_or_b32_e32 v154, v229, v154
	;; [unrolled: 1-line block ×3, first 2 shown]
	.loc	1 67 20                         ; fp8_utils_aot.py:67:20
	v_cndmask_b32_e64 v164, v207, v164, s[26:27]
	.loc	1 66 20                         ; fp8_utils_aot.py:66:20
	v_lshlrev_b16_e32 v231, 7, v127
	v_lshlrev_b16_sdwa v235, v211, v127 dst_sel:DWORD dst_unused:UNUSED_PAD src0_sel:DWORD src1_sel:WORD_1
	v_lshlrev_b16_sdwa v237, v213, v127 dst_sel:DWORD dst_unused:UNUSED_PAD src0_sel:DWORD src1_sel:WORD_1
	v_and_b32_sdwa v239, v127, s33 dst_sel:DWORD dst_unused:UNUSED_PAD src0_sel:WORD_1 src1_sel:DWORD
	.loc	1 74 33                         ; fp8_utils_aot.py:74:33
	v_perm_b32 v154, v155, v154, s14
	v_perm_b32 v155, v116, v168, s14
	.loc	1 66 20                         ; fp8_utils_aot.py:66:20
	v_lshlrev_b16_sdwa v116, v211, v127 dst_sel:DWORD dst_unused:UNUSED_PAD src0_sel:DWORD src1_sel:BYTE_3
	v_lshlrev_b16_sdwa v229, v213, v127 dst_sel:DWORD dst_unused:UNUSED_PAD src0_sel:DWORD src1_sel:BYTE_3
	v_and_b32_sdwa v225, v127, s33 dst_sel:DWORD dst_unused:UNUSED_PAD src0_sel:BYTE_3 src1_sel:DWORD
	v_lshlrev_b16_e32 v127, 8, v163
	.loc	1 67 20                         ; fp8_utils_aot.py:67:20
	s_waitcnt lgkmcnt(2)
	v_and_b32_e32 v163, 0x7f, v166
	v_cndmask_b32_e64 v164, v209, v164, s[28:29]
	v_cmp_ne_u16_e32 vcc, s33, v163
	v_cmp_ne_u16_e64 s[14:15], 0, v163
	v_cmp_ne_u16_e64 s[16:17], 1, v163
	v_cmp_ne_u16_e64 s[18:19], 2, v163
	v_cmp_ne_u16_e64 s[20:21], 3, v163
	v_cmp_ne_u16_e64 s[22:23], 4, v163
	v_cmp_ne_u16_e64 s[24:25], 5, v163
	v_cmp_ne_u16_e64 s[26:27], 6, v163
	v_cmp_ne_u16_e64 s[28:29], 7, v163
	v_lshlrev_b16_e32 v163, 7, v166
	v_and_b32_e32 v163, 0x3f80, v163
	v_add_u16_e32 v163, 0x2000, v163
	v_cndmask_b32_e32 v163, v193, v163, vcc
	v_cndmask_b32_e64 v163, 0, v163, s[14:15]
	v_cndmask_b32_e64 v163, v195, v163, s[16:17]
	v_cndmask_b32_e64 v163, v197, v163, s[18:19]
	v_cndmask_b32_e64 v163, v199, v163, s[20:21]
	v_cndmask_b32_e64 v163, v201, v163, s[22:23]
	v_and_b32_e32 v127, 0xffff8000, v127
	v_cndmask_b32_e64 v163, v205, v163, s[24:25]
	v_or_b32_e32 v127, v164, v127
	v_cndmask_b32_e64 v163, v207, v163, s[26:27]
	v_lshlrev_b16_e32 v164, 8, v166
	v_cndmask_b32_e64 v163, v209, v163, s[28:29]
	v_and_b32_e32 v164, 0xffff8000, v164
	v_or_b32_e32 v163, v163, v164
	s_waitcnt lgkmcnt(1)
	v_and_b32_e32 v164, 0x7f, v241
	v_cmp_ne_u16_e64 s[14:15], s33, v164
	v_cmp_ne_u16_e64 s[16:17], 0, v164
	;; [unrolled: 1-line block ×9, first 2 shown]
	v_lshlrev_b16_e32 v164, 7, v241
	v_and_b32_e32 v164, 0x3f80, v164
	v_add_u16_e32 v164, 0x2000, v164
	v_cndmask_b32_e64 v164, v193, v164, s[14:15]
	v_cndmask_b32_e64 v164, 0, v164, s[16:17]
	;; [unrolled: 1-line block ×7, first 2 shown]
	v_cmp_ne_u16_e32 vcc, 7, v223
	v_cndmask_b32_e64 v164, v207, v164, s[28:29]
	v_lshlrev_b16_e32 v166, 8, v241
	v_lshlrev_b16_e32 v158, 8, v158
	v_cndmask_b32_e64 v164, v209, v164, s[30:31]
	v_cndmask_b32_e32 v159, v209, v159, vcc
	v_and_b32_e32 v166, 0xffff8000, v166
	v_and_b32_e32 v158, 0xffff8000, v158
	v_or_b32_e32 v164, v164, v166
	v_or_b32_e32 v158, v159, v158
	s_mov_b32 s14, 0x5040100
	.loc	1 66 20                         ; fp8_utils_aot.py:66:20
	v_lshlrev_b16_e32 v166, 8, v114
	.loc	1 74 33                         ; fp8_utils_aot.py:74:33
	v_perm_b32 v159, v158, v164, s14
	v_perm_b32 v158, v163, v127, s14
	.loc	1 66 20                         ; fp8_utils_aot.py:66:20
	v_lshlrev_b16_sdwa v127, v211, v114 dst_sel:DWORD dst_unused:UNUSED_PAD src0_sel:DWORD src1_sel:WORD_1
	v_lshlrev_b16_sdwa v114, v211, v114 dst_sel:DWORD dst_unused:UNUSED_PAD src0_sel:DWORD src1_sel:BYTE_3
	v_lshlrev_b16_e32 v122, 8, v122
	v_cndmask_b32_e64 v126, v209, v126, s[64:65]
	v_cndmask_b32_e64 v163, v209, v217, s[66:67]
	.loc	1 74 33                         ; fp8_utils_aot.py:74:33
	v_and_b32_e32 v127, 0xffff8000, v127
	v_and_b32_e32 v114, 0xffff8000, v114
	.loc	1 66 20                         ; fp8_utils_aot.py:66:20
	v_cndmask_b32_e64 v221, v209, v236, s[52:53]
	v_cndmask_b32_e64 v124, v209, v124, s[62:63]
	.loc	1 74 33                         ; fp8_utils_aot.py:74:33
	v_or_b32_e32 v127, v163, v127
	v_or_b32_e32 v114, v126, v114
	v_and_b32_e32 v126, 0xffff8000, v166
	v_and_b32_e32 v122, 0xffff8000, v122
	v_or_b32_e32 v124, v124, v126
	v_or_b32_e32 v122, v221, v122
	v_perm_b32 v127, v114, v127, s14
	.loc	1 66 20                         ; fp8_utils_aot.py:66:20
	v_lshlrev_b16_sdwa v114, v211, v112 dst_sel:DWORD dst_unused:UNUSED_PAD src0_sel:DWORD src1_sel:WORD_1
	.loc	1 74 33                         ; fp8_utils_aot.py:74:33
	v_perm_b32 v126, v122, v124, s14
	.loc	1 66 20                         ; fp8_utils_aot.py:66:20
	v_cndmask_b32_e64 v122, v209, v219, s[70:71]
	.loc	1 74 33                         ; fp8_utils_aot.py:74:33
	v_and_b32_e32 v114, 0xffff8000, v114
	v_or_b32_e32 v114, v122, v114
	.loc	1 66 20                         ; fp8_utils_aot.py:66:20
	v_lshlrev_b16_sdwa v122, v211, v112 dst_sel:DWORD dst_unused:UNUSED_PAD src0_sel:DWORD src1_sel:BYTE_3
	v_cndmask_b32_e64 v124, v209, v215, s[68:69]
	.loc	1 74 33                         ; fp8_utils_aot.py:74:33
	v_and_b32_e32 v122, 0xffff8000, v122
	v_or_b32_e32 v122, v124, v122
	.loc	1 66 20                         ; fp8_utils_aot.py:66:20
	v_and_b32_e32 v124, 0x7f, v112
	v_cmp_ne_u16_e32 vcc, s33, v124
	v_cmp_ne_u16_e64 s[14:15], 0, v124
	v_cmp_ne_u16_e64 s[16:17], 1, v124
	;; [unrolled: 1-line block ×8, first 2 shown]
	v_lshlrev_b16_e32 v124, 7, v112
	v_and_b32_e32 v124, 0x3f80, v124
	v_add_u16_e32 v124, 0x2000, v124
	v_cndmask_b32_e32 v124, v193, v124, vcc
	v_cndmask_b32_e64 v124, 0, v124, s[14:15]
	v_cndmask_b32_e64 v124, v195, v124, s[16:17]
	v_cndmask_b32_e64 v124, v197, v124, s[18:19]
	v_cndmask_b32_e64 v124, v199, v124, s[20:21]
	v_cndmask_b32_e64 v124, v201, v124, s[22:23]
	v_cndmask_b32_e64 v124, v205, v124, s[24:25]
	v_cndmask_b32_e64 v124, v207, v124, s[26:27]
	v_lshlrev_b16_e32 v112, 8, v112
	.loc	1 0 0 is_stmt 0                 ; fp8_utils_aot.py:0
	v_lshrrev_b32_e32 v223, 8, v125
	.loc	1 66 20                         ; fp8_utils_aot.py:66:20
	v_cndmask_b32_e64 v124, v209, v124, s[28:29]
	.loc	1 74 33 is_stmt 1               ; fp8_utils_aot.py:74:33
	v_and_b32_e32 v112, 0xffff8000, v112
	v_or_b32_e32 v112, v124, v112
	.loc	1 66 20                         ; fp8_utils_aot.py:66:20
	v_and_b32_e32 v124, 0x7f, v223
	v_cmp_ne_u16_e64 s[64:65], s33, v124
	v_cmp_ne_u16_e64 s[66:67], 0, v124
	;; [unrolled: 1-line block ×4, first 2 shown]
	v_cmp_ne_u16_e32 vcc, 3, v124
	v_cmp_ne_u16_e64 s[52:53], 4, v124
	v_cmp_ne_u16_e64 s[54:55], 5, v124
	;; [unrolled: 1-line block ×4, first 2 shown]
	v_lshlrev_b16_e32 v124, 7, v118
	v_and_b32_e32 v124, 0x3f80, v124
	v_add_u16_e32 v124, 0x2000, v124
	v_cndmask_b32_e64 v124, v193, v124, s[60:61]
	v_cndmask_b32_e64 v124, 0, v124, s[58:59]
	;; [unrolled: 1-line block ×8, first 2 shown]
	v_lshlrev_b16_e32 v118, 8, v118
	v_cndmask_b32_e64 v124, v209, v124, s[2:3]
	.loc	1 74 33                         ; fp8_utils_aot.py:74:33
	v_and_b32_e32 v118, 0xffff8000, v118
	v_or_b32_e32 v118, v124, v118
	s_mov_b32 s0, 0x5040100
	.loc	1 66 20                         ; fp8_utils_aot.py:66:20
	v_lshlrev_b16_e32 v163, 8, v125
	v_lshlrev_b16_e32 v247, 7, v125
	v_and_b32_e32 v245, 0x7f, v125
	v_lshlrev_b16_sdwa v221, v211, v125 dst_sel:DWORD dst_unused:UNUSED_PAD src0_sel:DWORD src1_sel:WORD_1
	v_lshlrev_b16_sdwa v166, v213, v125 dst_sel:DWORD dst_unused:UNUSED_PAD src0_sel:DWORD src1_sel:WORD_1
	v_and_b32_sdwa v249, v125, s33 dst_sel:DWORD dst_unused:UNUSED_PAD src0_sel:WORD_1 src1_sel:DWORD
	.loc	1 74 33                         ; fp8_utils_aot.py:74:33
	v_mfma_f32_32x32x8f16 v[0:15], v[158:159], v[146:147], v[0:15]
	.loc	1 66 20                         ; fp8_utils_aot.py:66:20
	v_lshlrev_b16_sdwa v164, v211, v125 dst_sel:DWORD dst_unused:UNUSED_PAD src0_sel:DWORD src1_sel:BYTE_3
	v_lshlrev_b16_sdwa v172, v213, v125 dst_sel:DWORD dst_unused:UNUSED_PAD src0_sel:DWORD src1_sel:BYTE_3
	v_and_b32_sdwa v170, v125, s33 dst_sel:DWORD dst_unused:UNUSED_PAD src0_sel:BYTE_3 src1_sel:DWORD
	.loc	1 74 33                         ; fp8_utils_aot.py:74:33
	v_perm_b32 v124, v118, v112, s0
	v_perm_b32 v125, v122, v114, s0
	.loc	1 0 0 is_stmt 0                 ; fp8_utils_aot.py:0
	v_lshrrev_b32_e32 v118, 8, v123
	.loc	1 66 20 is_stmt 1               ; fp8_utils_aot.py:66:20
	v_lshlrev_b16_e32 v112, 8, v123
	v_lshlrev_b16_e32 v251, 7, v123
	v_and_b32_e32 v122, 0x7f, v123
	v_lshlrev_b16_sdwa v168, v213, v123 dst_sel:DWORD dst_unused:UNUSED_PAD src0_sel:DWORD src1_sel:WORD_1
	v_lshlrev_b16_sdwa v114, v211, v123 dst_sel:DWORD dst_unused:UNUSED_PAD src0_sel:DWORD src1_sel:BYTE_3
	v_and_b32_sdwa v215, v123, s33 dst_sel:DWORD dst_unused:UNUSED_PAD src0_sel:BYTE_3 src1_sel:DWORD
	v_cmp_ne_u16_e64 s[20:21], s33, v239
	v_cmp_ne_u16_e64 s[18:19], 0, v239
	;; [unrolled: 1-line block ×3, first 2 shown]
	.loc	1 74 33                         ; fp8_utils_aot.py:74:33
	v_mfma_f32_32x32x8f16 v[16:31], v[158:159], v[154:155], v[16:31]
	.loc	1 66 20                         ; fp8_utils_aot.py:66:20
	v_lshlrev_b16_sdwa v158, v211, v123 dst_sel:DWORD dst_unused:UNUSED_PAD src0_sel:DWORD src1_sel:WORD_1
	v_and_b32_sdwa v155, v123, s33 dst_sel:DWORD dst_unused:UNUSED_PAD src0_sel:WORD_1 src1_sel:DWORD
	v_lshlrev_b16_sdwa v154, v213, v123 dst_sel:DWORD dst_unused:UNUSED_PAD src0_sel:DWORD src1_sel:BYTE_3
	v_and_b32_e32 v123, 0x3f80, v237
	v_add_u16_e32 v123, 0x2000, v123
	v_cndmask_b32_e64 v123, v193, v123, s[20:21]
	v_cndmask_b32_e64 v123, 0, v123, s[18:19]
	v_cmp_ne_u16_e64 s[14:15], 2, v239
	v_cndmask_b32_e64 v123, v195, v123, s[16:17]
	v_cmp_ne_u16_e64 s[12:13], 3, v239
	;; [unrolled: 2-line block ×6, first 2 shown]
	v_cndmask_b32_e64 v123, v207, v123, s[2:3]
	v_cndmask_b32_e64 v123, v209, v123, s[0:1]
	.loc	1 74 33                         ; fp8_utils_aot.py:74:33
	v_and_b32_e32 v146, 0xffff8000, v235
	v_or_b32_e32 v123, v123, v146
	.loc	1 66 20                         ; fp8_utils_aot.py:66:20
	v_and_b32_e32 v146, 0x7f, v118
	v_cmp_ne_u16_e64 s[18:19], 7, v146
	v_writelane_b32 v253, s18, 32
	v_writelane_b32 v253, s19, 33
	v_cmp_ne_u16_e64 s[18:19], s33, v122
	v_cmp_ne_u16_e64 s[20:21], 0, v122
	;; [unrolled: 1-line block ×9, first 2 shown]
	v_lshlrev_b16_e32 v122, 7, v120
	v_and_b32_e32 v122, 0x3f80, v122
	v_add_u16_e32 v122, 0x2000, v122
	v_and_b32_e32 v147, 0x3f80, v229
	v_cmp_ne_u16_e64 s[60:61], s33, v146
	v_cmp_ne_u16_e64 s[0:1], 0, v146
	;; [unrolled: 1-line block ×8, first 2 shown]
	v_cndmask_b32_e64 v122, v193, v122, s[6:7]
	v_and_b32_e32 v146, 0x3f80, v231
	v_add_u16_e32 v147, 0x2000, v147
	v_cmp_ne_u16_e64 s[6:7], s33, v225
	v_add_u16_e32 v146, 0x2000, v146
	v_cndmask_b32_e64 v147, v193, v147, s[6:7]
	v_cmp_ne_u16_e64 s[6:7], 0, v225
	v_cndmask_b32_e64 v122, 0, v122, s[80:81]
	v_cndmask_b32_e64 v146, v193, v146, s[78:79]
	v_cndmask_b32_e64 v147, 0, v147, s[6:7]
	v_cmp_ne_u16_e64 s[6:7], 1, v225
	v_cndmask_b32_e64 v122, v195, v122, s[84:85]
	v_cndmask_b32_e64 v146, 0, v146, s[82:83]
	;; [unrolled: 4-line block ×4, first 2 shown]
	v_cndmask_b32_e64 v147, v199, v147, s[6:7]
	v_cmp_ne_u16_e64 s[6:7], 4, v225
	.loc	1 67 20                         ; fp8_utils_aot.py:67:20
	ds_read_u8 v159, v162 offset:6528
	.loc	1 66 20                         ; fp8_utils_aot.py:66:20
	v_cndmask_b32_e64 v122, v201, v122, s[36:37]
	v_cndmask_b32_e64 v146, v199, v146, s[94:95]
	;; [unrolled: 1-line block ×3, first 2 shown]
	v_cmp_ne_u16_e64 s[6:7], 5, v225
	v_cndmask_b32_e64 v122, v205, v122, s[40:41]
	v_cndmask_b32_e64 v146, v201, v146, s[38:39]
	v_cmp_ne_u16_e64 s[8:9], 6, v225
	v_cndmask_b32_e64 v147, v205, v147, s[6:7]
	v_cndmask_b32_e64 v122, v207, v122, s[42:43]
	;; [unrolled: 1-line block ×3, first 2 shown]
	v_cmp_ne_u16_e64 s[36:37], 7, v225
	v_cndmask_b32_e64 v147, v207, v147, s[8:9]
	v_lshlrev_b16_e32 v120, 8, v120
	v_cndmask_b32_e64 v146, v207, v146, s[46:47]
	v_cndmask_b32_e64 v147, v209, v147, s[36:37]
	.loc	1 74 33                         ; fp8_utils_aot.py:74:33
	v_and_b32_e32 v116, 0xffff8000, v116
	.loc	1 66 20                         ; fp8_utils_aot.py:66:20
	v_cndmask_b32_e64 v122, v209, v122, s[72:73]
	.loc	1 74 33                         ; fp8_utils_aot.py:74:33
	v_and_b32_e32 v120, 0xffff8000, v120
	v_or_b32_e32 v116, v147, v116
	.loc	1 66 20                         ; fp8_utils_aot.py:66:20
	v_cndmask_b32_e64 v146, v209, v146, s[74:75]
	.loc	1 74 33                         ; fp8_utils_aot.py:74:33
	v_or_b32_e32 v120, v122, v120
	.loc	1 67 20                         ; fp8_utils_aot.py:67:20
	ds_read_u8 v225, v162 offset:11264
	ds_read_u8 v122, v162 offset:6272
	s_waitcnt lgkmcnt(2)
	v_lshlrev_b16_e32 v147, 7, v159
	v_and_b32_e32 v147, 0x3f80, v147
	.loc	1 74 33                         ; fp8_utils_aot.py:74:33
	v_or_b32_e32 v146, v146, v176
	.loc	1 67 20                         ; fp8_utils_aot.py:67:20
	v_and_b32_e32 v176, 0x7f, v159
	v_add_u16_e32 v147, 0x2000, v147
	v_cmp_ne_u16_e64 s[6:7], s33, v176
	v_cndmask_b32_e64 v147, v193, v147, s[6:7]
	v_cmp_ne_u16_e64 s[6:7], 0, v176
	v_cndmask_b32_e64 v147, 0, v147, s[6:7]
	v_cmp_ne_u16_e64 s[6:7], 1, v176
	s_mov_b32 s90, 0x5040100
	v_cndmask_b32_e64 v147, v195, v147, s[6:7]
	v_cmp_ne_u16_e64 s[6:7], 2, v176
	v_cndmask_b32_e64 v178, v197, v147, s[6:7]
	.loc	1 74 33                         ; fp8_utils_aot.py:74:33
	v_perm_b32 v147, v116, v123, s90
	.loc	1 67 20                         ; fp8_utils_aot.py:67:20
	ds_read_u8 v123, v162 offset:6144
	s_waitcnt lgkmcnt(1)
	v_lshlrev_b16_e32 v116, 7, v122
	.loc	1 74 33                         ; fp8_utils_aot.py:74:33
	v_perm_b32 v146, v120, v146, s90
	.loc	1 67 20                         ; fp8_utils_aot.py:67:20
	v_and_b32_e32 v116, 0x3f80, v116
	v_and_b32_e32 v120, 0x7f, v122
	v_add_u16_e32 v116, 0x2000, v116
	v_cmp_ne_u16_e64 s[40:41], s33, v120
	v_cndmask_b32_e64 v116, v193, v116, s[40:41]
	v_cmp_ne_u16_e64 s[40:41], 0, v120
	v_cndmask_b32_e64 v116, 0, v116, s[40:41]
	;; [unrolled: 2-line block ×6, first 2 shown]
	v_cmp_ne_u16_e64 s[40:41], 5, v120
	.loc	1 66 20                         ; fp8_utils_aot.py:66:20
	v_writelane_b32 v253, s48, 22
	.loc	1 67 20                         ; fp8_utils_aot.py:67:20
	v_cndmask_b32_e64 v116, v205, v116, s[40:41]
	v_cmp_ne_u16_e64 s[40:41], 6, v120
	v_cmp_ne_u16_e64 s[42:43], 7, v120
	s_waitcnt lgkmcnt(0)
	v_and_b32_e32 v120, 0x7f, v123
	.loc	1 66 20                         ; fp8_utils_aot.py:66:20
	v_writelane_b32 v253, s49, 23
	.loc	1 67 20                         ; fp8_utils_aot.py:67:20
	v_cmp_ne_u16_e64 s[44:45], s33, v120
	v_cmp_ne_u16_e64 s[46:47], 0, v120
	;; [unrolled: 1-line block ×9, first 2 shown]
	v_lshlrev_b16_e32 v120, 7, v123
	v_and_b32_e32 v120, 0x3f80, v120
	v_add_u16_e32 v120, 0x2000, v120
	v_cndmask_b32_e64 v120, v193, v120, s[44:45]
	v_cndmask_b32_e64 v120, 0, v120, s[46:47]
	;; [unrolled: 1-line block ×8, first 2 shown]
	v_lshlrev_b16_e32 v123, 8, v123
	v_cndmask_b32_e64 v120, v209, v120, s[78:79]
	v_and_b32_e32 v123, 0xffff8000, v123
	v_or_b32_e32 v120, v120, v123
	ds_read_u8 v123, v162 offset:6400
	v_cndmask_b32_e64 v116, v207, v116, s[40:41]
	v_lshlrev_b16_e32 v122, 8, v122
	v_cndmask_b32_e64 v116, v209, v116, s[42:43]
	v_and_b32_e32 v122, 0xffff8000, v122
	v_cmp_ne_u16_e64 s[6:7], 3, v176
	v_cmp_ne_u16_e64 s[8:9], 4, v176
	;; [unrolled: 1-line block ×5, first 2 shown]
	v_or_b32_e32 v116, v116, v122
	ds_read_u8 v176, v162 offset:7552
	s_waitcnt lgkmcnt(1)
	v_and_b32_e32 v122, 0x7f, v123
	v_cmp_ne_u16_e64 s[42:43], s33, v122
	v_cmp_ne_u16_e64 s[44:45], 0, v122
	;; [unrolled: 1-line block ×9, first 2 shown]
	v_lshlrev_b16_e32 v122, 7, v123
	v_and_b32_e32 v122, 0x3f80, v122
	v_add_u16_e32 v122, 0x2000, v122
	v_cndmask_b32_e64 v122, v193, v122, s[42:43]
	v_cndmask_b32_e64 v122, 0, v122, s[44:45]
	;; [unrolled: 1-line block ×8, first 2 shown]
	v_lshlrev_b16_e32 v123, 8, v123
	v_cndmask_b32_e64 v122, v209, v122, s[76:77]
	v_and_b32_e32 v123, 0xffff8000, v123
	v_or_b32_e32 v122, v122, v123
	v_cndmask_b32_e64 v123, v199, v178, s[6:7]
	v_cndmask_b32_e64 v123, v201, v123, s[8:9]
	;; [unrolled: 1-line block ×4, first 2 shown]
	v_lshlrev_b16_e32 v159, 8, v159
	v_and_b32_e32 v159, 0xffff8000, v159
	v_cndmask_b32_e64 v123, v209, v123, s[40:41]
	v_or_b32_e32 v123, v123, v159
	.loc	1 74 33                         ; fp8_utils_aot.py:74:33
	v_perm_b32 v123, v123, v122, s90
	v_perm_b32 v122, v116, v120, s90
	.loc	1 67 20                         ; fp8_utils_aot.py:67:20
	s_waitcnt lgkmcnt(0)
	v_lshlrev_b16_e32 v116, 7, v176
	v_and_b32_e32 v116, 0x3f80, v116
	v_and_b32_e32 v120, 0x7f, v176
	v_add_u16_e32 v116, 0x2000, v116
	v_cmp_ne_u16_e64 s[6:7], s33, v120
	v_cndmask_b32_e64 v116, v193, v116, s[6:7]
	v_cmp_ne_u16_e64 s[6:7], 0, v120
	v_cndmask_b32_e64 v116, 0, v116, s[6:7]
	;; [unrolled: 2-line block ×3, first 2 shown]
	v_cmp_ne_u16_e64 s[6:7], 2, v120
	ds_read_u8 v159, v162 offset:7168
	v_cndmask_b32_e64 v116, v197, v116, s[6:7]
	v_cmp_ne_u16_e64 s[6:7], 3, v120
	v_cmp_ne_u16_e64 s[8:9], 4, v120
	;; [unrolled: 1-line block ×5, first 2 shown]
	ds_read_u8 v120, v162 offset:7296
	.loc	1 74 33                         ; fp8_utils_aot.py:74:33
	v_mfma_f32_32x32x8f16 v[0:15], v[122:123], v[142:143], v[0:15]
	.loc	1 67 20                         ; fp8_utils_aot.py:67:20
	v_cndmask_b32_e64 v116, v199, v116, s[6:7]
	v_cndmask_b32_e64 v116, v201, v116, s[8:9]
	v_cndmask_b32_e64 v116, v205, v116, s[36:37]
	v_cndmask_b32_e64 v116, v207, v116, s[38:39]
	ds_read_u8 v178, v162 offset:9344
	v_lshlrev_b16_e32 v176, 8, v176
	v_and_b32_e32 v176, 0xffff8000, v176
	v_cndmask_b32_e64 v116, v209, v116, s[40:41]
	v_or_b32_e32 v116, v116, v176
	s_mov_b32 s94, 0x5040100
	.loc	1 66 20                         ; fp8_utils_aot.py:66:20
	v_lshlrev_b16_e32 v219, 7, v121
	v_lshlrev_b16_sdwa v217, v213, v121 dst_sel:DWORD dst_unused:UNUSED_PAD src0_sel:DWORD src1_sel:BYTE_3
	v_lshlrev_b16_e32 v243, 7, v119
	v_and_b32_e32 v234, 0x7f, v119
	v_lshlrev_b16_sdwa v239, v213, v119 dst_sel:DWORD dst_unused:UNUSED_PAD src0_sel:DWORD src1_sel:WORD_1
	.loc	1 74 33                         ; fp8_utils_aot.py:74:33
	v_mfma_f32_32x32x8f16 v[16:31], v[122:123], v[126:127], v[16:31]
	.loc	1 67 20                         ; fp8_utils_aot.py:67:20
	ds_read_u8 v126, v162 offset:8320
	s_waitcnt lgkmcnt(2)
	v_lshlrev_b16_e32 v142, 7, v120
	v_and_b32_e32 v142, 0x3f80, v142
	v_and_b32_e32 v143, 0x7f, v120
	v_add_u16_e32 v142, 0x2000, v142
	v_cmp_ne_u16_e64 s[6:7], s33, v143
	v_cndmask_b32_e64 v142, v193, v142, s[6:7]
	v_cmp_ne_u16_e64 s[6:7], 0, v143
	v_cndmask_b32_e64 v142, 0, v142, s[6:7]
	;; [unrolled: 2-line block ×5, first 2 shown]
	v_cmp_ne_u16_e64 s[6:7], 4, v143
	v_cmp_ne_u16_e64 s[8:9], 5, v143
	;; [unrolled: 1-line block ×4, first 2 shown]
	v_and_b32_e32 v143, 0x7f, v159
	v_cmp_ne_u16_e64 s[42:43], s33, v143
	v_cmp_ne_u16_e64 s[44:45], 0, v143
	;; [unrolled: 1-line block ×9, first 2 shown]
	v_lshlrev_b16_e32 v143, 7, v159
	v_and_b32_e32 v143, 0x3f80, v143
	v_add_u16_e32 v143, 0x2000, v143
	v_cndmask_b32_e64 v143, v193, v143, s[42:43]
	v_cndmask_b32_e64 v143, 0, v143, s[44:45]
	;; [unrolled: 1-line block ×8, first 2 shown]
	v_lshlrev_b16_e32 v159, 8, v159
	v_cndmask_b32_e64 v143, v209, v143, s[76:77]
	v_and_b32_e32 v159, 0xffff8000, v159
	v_or_b32_e32 v143, v143, v159
	ds_read_u8 v159, v162 offset:7424
	v_cndmask_b32_e64 v142, v201, v142, s[6:7]
	v_cndmask_b32_e64 v142, v205, v142, s[8:9]
	;; [unrolled: 1-line block ×3, first 2 shown]
	v_lshlrev_b16_e32 v120, 8, v120
	v_and_b32_e32 v120, 0xffff8000, v120
	v_cndmask_b32_e64 v142, v209, v142, s[38:39]
	v_or_b32_e32 v120, v142, v120
	s_waitcnt lgkmcnt(0)
	v_and_b32_e32 v142, 0x7f, v159
	v_cmp_ne_u16_e64 s[6:7], s33, v142
	v_cmp_ne_u16_e64 s[8:9], 0, v142
	;; [unrolled: 1-line block ×9, first 2 shown]
	v_lshlrev_b16_e32 v142, 7, v159
	v_and_b32_e32 v142, 0x3f80, v142
	v_add_u16_e32 v142, 0x2000, v142
	v_cndmask_b32_e64 v142, v193, v142, s[6:7]
	v_cndmask_b32_e64 v142, 0, v142, s[8:9]
	;; [unrolled: 1-line block ×8, first 2 shown]
	v_lshlrev_b16_e32 v159, 8, v159
	v_and_b32_e32 v159, 0xffff8000, v159
	v_cndmask_b32_e64 v142, v209, v142, s[50:51]
	v_or_b32_e32 v142, v142, v159
	ds_read_u8 v159, v162 offset:8576
	v_lshlrev_b16_e32 v127, 7, v126
	v_and_b32_e32 v127, 0x3f80, v127
	v_add_u16_e32 v127, 0x2000, v127
	.loc	1 66 20                         ; fp8_utils_aot.py:66:20
	v_lshlrev_b16_sdwa v241, v213, v119 dst_sel:DWORD dst_unused:UNUSED_PAD src0_sel:DWORD src1_sel:BYTE_3
	.loc	1 67 20                         ; fp8_utils_aot.py:67:20
	s_waitcnt lgkmcnt(0)
	v_lshlrev_b16_e32 v176, 7, v159
	v_and_b32_e32 v176, 0x3f80, v176
	v_and_b32_e32 v122, 0x7f, v159
	v_add_u16_e32 v176, 0x2000, v176
	v_cmp_ne_u16_e64 s[6:7], s33, v122
	v_cndmask_b32_e64 v123, v193, v176, s[6:7]
	v_and_b32_e32 v176, 0x7f, v126
	v_cmp_ne_u16_e64 s[40:41], s33, v176
	v_cndmask_b32_e64 v127, v193, v127, s[40:41]
	v_cmp_ne_u16_e64 s[40:41], 0, v176
	v_cndmask_b32_e64 v127, 0, v127, s[40:41]
	;; [unrolled: 2-line block ×4, first 2 shown]
	v_cmp_ne_u16_e64 s[40:41], 3, v176
	v_cmp_ne_u16_e64 s[6:7], 0, v122
	v_cndmask_b32_e64 v127, v199, v127, s[40:41]
	v_cmp_ne_u16_e64 s[40:41], 4, v176
	v_cndmask_b32_e64 v123, 0, v123, s[6:7]
	;; [unrolled: 2-line block ×6, first 2 shown]
	v_cmp_ne_u16_e64 s[6:7], 3, v122
	v_cmp_ne_u16_e64 s[8:9], 4, v122
	v_cmp_ne_u16_e64 s[36:37], 5, v122
	v_cmp_ne_u16_e64 s[38:39], 6, v122
	v_cndmask_b32_e64 v127, v207, v127, s[40:41]
	v_cmp_ne_u16_e64 s[40:41], 7, v122
	ds_read_u8 v122, v162 offset:8192
	v_cmp_ne_u16_e64 s[42:43], 7, v176
	v_lshlrev_b16_e32 v126, 8, v126
	v_cndmask_b32_e64 v127, v209, v127, s[42:43]
	v_and_b32_e32 v126, 0xffff8000, v126
	s_waitcnt lgkmcnt(0)
	v_and_b32_e32 v176, 0x7f, v122
	v_cmp_ne_u16_e64 s[44:45], s33, v176
	v_cmp_ne_u16_e64 s[46:47], 0, v176
	;; [unrolled: 1-line block ×9, first 2 shown]
	v_lshlrev_b16_e32 v176, 7, v122
	v_and_b32_e32 v176, 0x3f80, v176
	v_add_u16_e32 v176, 0x2000, v176
	v_cndmask_b32_e64 v176, v193, v176, s[44:45]
	v_cndmask_b32_e64 v176, 0, v176, s[46:47]
	;; [unrolled: 1-line block ×8, first 2 shown]
	v_lshlrev_b16_e32 v122, 8, v122
	v_cndmask_b32_e64 v176, v209, v176, s[78:79]
	v_and_b32_e32 v122, 0xffff8000, v122
	v_or_b32_e32 v176, v176, v122
	ds_read_u8 v122, v162 offset:8448
	v_or_b32_e32 v126, v127, v126
	.loc	1 66 20                         ; fp8_utils_aot.py:66:20
	v_lshlrev_b16_e32 v235, 7, v117
	v_lshlrev_b16_sdwa v231, v213, v117 dst_sel:DWORD dst_unused:UNUSED_PAD src0_sel:DWORD src1_sel:BYTE_3
                                        ; implicit-def: $vgpr255 : SGPR spill to VGPR lane
	.loc	1 74 33                         ; fp8_utils_aot.py:74:33
	v_and_b32_e32 v158, 0xffff8000, v158
	.loc	1 67 20                         ; fp8_utils_aot.py:67:20
	s_waitcnt lgkmcnt(0)
	v_and_b32_e32 v127, 0x7f, v122
	v_cmp_ne_u16_e64 s[42:43], s33, v127
	v_cmp_ne_u16_e64 s[44:45], 0, v127
	;; [unrolled: 1-line block ×9, first 2 shown]
	v_lshlrev_b16_e32 v127, 7, v122
	v_and_b32_e32 v127, 0x3f80, v127
	v_add_u16_e32 v127, 0x2000, v127
	v_cndmask_b32_e64 v127, v193, v127, s[42:43]
	v_cndmask_b32_e64 v127, 0, v127, s[44:45]
	;; [unrolled: 1-line block ×8, first 2 shown]
	v_lshlrev_b16_e32 v122, 8, v122
	v_cndmask_b32_e64 v127, v209, v127, s[76:77]
	v_and_b32_e32 v122, 0xffff8000, v122
	v_or_b32_e32 v127, v127, v122
	v_cndmask_b32_e64 v122, v199, v123, s[6:7]
	v_cndmask_b32_e64 v122, v201, v122, s[8:9]
	;; [unrolled: 1-line block ×4, first 2 shown]
	v_lshlrev_b16_e32 v123, 8, v159
	v_and_b32_e32 v123, 0xffff8000, v123
	v_cndmask_b32_e64 v122, v209, v122, s[40:41]
	v_or_b32_e32 v159, v122, v123
	.loc	1 74 33                         ; fp8_utils_aot.py:74:33
	v_perm_b32 v123, v116, v142, s90
	.loc	1 67 20                         ; fp8_utils_aot.py:67:20
	v_lshlrev_b16_e32 v116, 7, v178
	.loc	1 74 33                         ; fp8_utils_aot.py:74:33
	v_perm_b32 v122, v120, v143, s90
	.loc	1 67 20                         ; fp8_utils_aot.py:67:20
	v_and_b32_e32 v116, 0x3f80, v116
	v_and_b32_e32 v120, 0x7f, v178
	v_add_u16_e32 v116, 0x2000, v116
	v_cmp_ne_u16_e64 s[6:7], s33, v120
	v_cndmask_b32_e64 v116, v193, v116, s[6:7]
	v_cmp_ne_u16_e64 s[6:7], 0, v120
	v_cndmask_b32_e64 v116, 0, v116, s[6:7]
	;; [unrolled: 2-line block ×4, first 2 shown]
	v_cmp_ne_u16_e64 s[6:7], 3, v120
	v_cmp_ne_u16_e64 s[8:9], 4, v120
	v_cmp_ne_u16_e64 s[36:37], 5, v120
	v_cmp_ne_u16_e64 s[38:39], 6, v120
	v_cmp_ne_u16_e64 s[40:41], 7, v120
	v_and_b32_e32 v120, 0x7f, v180
	v_cmp_ne_u16_e64 s[42:43], s33, v120
	v_cmp_ne_u16_e64 s[44:45], 0, v120
	;; [unrolled: 1-line block ×9, first 2 shown]
	v_lshlrev_b16_e32 v120, 7, v180
	v_and_b32_e32 v120, 0x3f80, v120
	v_add_u16_e32 v120, 0x2000, v120
	v_cndmask_b32_e64 v120, v193, v120, s[42:43]
	v_cndmask_b32_e64 v120, 0, v120, s[44:45]
	;; [unrolled: 1-line block ×8, first 2 shown]
	v_lshlrev_b16_e32 v142, 8, v180
	v_cndmask_b32_e64 v120, v209, v120, s[76:77]
	v_and_b32_e32 v142, 0xffff8000, v142
	v_or_b32_e32 v120, v120, v142
	ds_read_u8 v142, v162 offset:9472
	v_cndmask_b32_e64 v116, v199, v116, s[6:7]
	v_cndmask_b32_e64 v116, v201, v116, s[8:9]
	;; [unrolled: 1-line block ×4, first 2 shown]
	v_lshlrev_b16_e32 v143, 8, v178
	v_and_b32_e32 v143, 0xffff8000, v143
	v_cndmask_b32_e64 v116, v209, v116, s[40:41]
	v_or_b32_e32 v116, v116, v143
	.loc	1 74 33                         ; fp8_utils_aot.py:74:33
	v_mfma_f32_32x32x8f16 v[16:31], v[122:123], v[124:125], v[16:31]
	.loc	1 67 20                         ; fp8_utils_aot.py:67:20
	ds_read_u8 v124, v162 offset:10240
	s_waitcnt lgkmcnt(1)
	v_and_b32_e32 v143, 0x7f, v142
	v_cmp_ne_u16_e64 s[6:7], s33, v143
	v_cmp_ne_u16_e64 s[8:9], 0, v143
	;; [unrolled: 1-line block ×9, first 2 shown]
	v_lshlrev_b16_e32 v143, 7, v142
	v_and_b32_e32 v143, 0x3f80, v143
	v_add_u16_e32 v143, 0x2000, v143
	v_cndmask_b32_e64 v143, v193, v143, s[6:7]
	v_cndmask_b32_e64 v143, 0, v143, s[8:9]
	v_cndmask_b32_e64 v143, v195, v143, s[36:37]
	v_cndmask_b32_e64 v143, v197, v143, s[38:39]
	v_cndmask_b32_e64 v143, v199, v143, s[40:41]
	v_cndmask_b32_e64 v143, v201, v143, s[42:43]
	v_cndmask_b32_e64 v143, v205, v143, s[44:45]
	v_cndmask_b32_e64 v143, v207, v143, s[46:47]
	v_lshlrev_b16_e32 v142, 8, v142
	v_and_b32_e32 v142, 0xffff8000, v142
	v_cndmask_b32_e64 v143, v209, v143, s[48:49]
	v_or_b32_e32 v142, v143, v142
	ds_read_u8 v143, v162 offset:9600
	.loc	1 74 33                         ; fp8_utils_aot.py:74:33
	v_mfma_f32_32x32x8f16 v[0:15], v[122:123], v[140:141], v[0:15]
	.loc	1 67 20                         ; fp8_utils_aot.py:67:20
	s_waitcnt lgkmcnt(1)
	v_lshlrev_b16_e32 v125, 7, v124
	v_and_b32_e32 v125, 0x3f80, v125
	v_add_u16_e32 v125, 0x2000, v125
	s_waitcnt lgkmcnt(0)
	v_and_b32_e32 v178, 0x7f, v143
	v_cmp_ne_u16_e64 s[6:7], s33, v178
	v_cmp_ne_u16_e64 s[8:9], 0, v178
	;; [unrolled: 1-line block ×9, first 2 shown]
	v_lshlrev_b16_e32 v178, 7, v143
	v_and_b32_e32 v178, 0x3f80, v178
	v_add_u16_e32 v178, 0x2000, v178
	v_cndmask_b32_e64 v178, v193, v178, s[6:7]
	v_cndmask_b32_e64 v178, 0, v178, s[8:9]
	;; [unrolled: 1-line block ×3, first 2 shown]
	s_mov_b32 s6, 0x5040100
	v_cndmask_b32_e64 v178, v197, v178, s[38:39]
	.loc	1 74 33                         ; fp8_utils_aot.py:74:33
	v_perm_b32 v127, v159, v127, s6
	v_perm_b32 v126, v126, v176, s6
	.loc	1 67 20                         ; fp8_utils_aot.py:67:20
	ds_read_u8 v159, v162 offset:10496
	ds_read_u8 v176, v162 offset:10624
	v_cndmask_b32_e64 v178, v199, v178, s[40:41]
	v_cndmask_b32_e64 v178, v201, v178, s[42:43]
	;; [unrolled: 1-line block ×4, first 2 shown]
	v_lshlrev_b16_e32 v143, 8, v143
	v_and_b32_e32 v143, 0xffff8000, v143
	v_cndmask_b32_e64 v178, v209, v178, s[48:49]
	s_waitcnt lgkmcnt(0)
	v_lshlrev_b16_e32 v140, 7, v176
	v_or_b32_e32 v143, v178, v143
	v_and_b32_e32 v140, 0x3f80, v140
	v_and_b32_e32 v141, 0x7f, v176
	.loc	1 74 33                         ; fp8_utils_aot.py:74:33
	v_perm_b32 v143, v143, v142, s6
	v_perm_b32 v142, v116, v120, s6
	.loc	1 67 20                         ; fp8_utils_aot.py:67:20
	v_add_u16_e32 v140, 0x2000, v140
	v_cmp_ne_u16_e64 s[6:7], s33, v141
	v_cndmask_b32_e64 v140, v193, v140, s[6:7]
	v_cmp_ne_u16_e64 s[6:7], 0, v141
	v_cndmask_b32_e64 v140, 0, v140, s[6:7]
	;; [unrolled: 2-line block ×6, first 2 shown]
	v_cmp_ne_u16_e64 s[6:7], 5, v141
	v_lshlrev_b16_e32 v120, 7, v159
	v_cndmask_b32_e64 v140, v205, v140, s[6:7]
	v_cmp_ne_u16_e64 s[6:7], 6, v141
	v_and_b32_e32 v120, 0x3f80, v120
	v_cndmask_b32_e64 v140, v207, v140, s[6:7]
	v_cmp_ne_u16_e64 s[6:7], 7, v141
	v_and_b32_e32 v141, 0x7f, v159
	ds_read_u8 v116, v162 offset:10368
	v_add_u16_e32 v120, 0x2000, v120
	v_cmp_ne_u16_e64 s[8:9], s33, v141
	v_cndmask_b32_e64 v120, v193, v120, s[8:9]
	v_cmp_ne_u16_e64 s[8:9], 0, v141
	v_cndmask_b32_e64 v120, 0, v120, s[8:9]
	;; [unrolled: 2-line block ×5, first 2 shown]
	v_cmp_ne_u16_e64 s[8:9], 4, v141
	v_cmp_ne_u16_e64 s[36:37], 5, v141
	v_cmp_ne_u16_e64 s[38:39], 6, v141
	v_cmp_ne_u16_e64 s[40:41], 7, v141
	s_waitcnt lgkmcnt(0)
	v_lshlrev_b16_e32 v141, 7, v116
	v_and_b32_e32 v141, 0x3f80, v141
	v_and_b32_e32 v122, 0x7f, v116
	v_add_u16_e32 v141, 0x2000, v141
	v_cndmask_b32_e64 v120, v201, v120, s[8:9]
	v_cmp_ne_u16_e64 s[8:9], s33, v122
	v_cndmask_b32_e64 v123, v193, v141, s[8:9]
	v_cmp_ne_u16_e64 s[8:9], 0, v122
	;; [unrolled: 2-line block ×6, first 2 shown]
	v_and_b32_e32 v141, 0x7f, v124
	v_cndmask_b32_e64 v123, v201, v123, s[8:9]
	v_cmp_ne_u16_e64 s[8:9], s33, v141
	v_cndmask_b32_e64 v125, v193, v125, s[8:9]
	v_cmp_ne_u16_e64 s[8:9], 0, v141
	;; [unrolled: 2-line block ×11, first 2 shown]
	v_cndmask_b32_e64 v123, v205, v123, s[8:9]
	v_cndmask_b32_e64 v125, v209, v125, s[38:39]
	v_cmp_ne_u16_e64 s[38:39], 7, v122
	v_lshlrev_b16_e32 v122, 8, v124
	ds_read_u8 v124, v162 offset:11648
	v_cndmask_b32_e64 v123, v207, v123, s[36:37]
	v_lshlrev_b16_e32 v116, 8, v116
	v_and_b32_e32 v116, 0xffff8000, v116
	v_cndmask_b32_e64 v123, v209, v123, s[38:39]
	v_and_b32_e32 v122, 0xffff8000, v122
	v_or_b32_e32 v116, v123, v116
	v_lshlrev_b16_e32 v123, 8, v159
	v_or_b32_e32 v122, v125, v122
	v_lshlrev_b16_e32 v125, 8, v176
	v_and_b32_e32 v123, 0xffff8000, v123
	v_cndmask_b32_e64 v120, v209, v120, s[40:41]
	v_or_b32_e32 v120, v120, v123
	v_and_b32_e32 v123, 0xffff8000, v125
	v_cndmask_b32_e64 v125, v209, v140, s[6:7]
	v_or_b32_e32 v123, v125, v123
	.loc	1 74 33                         ; fp8_utils_aot.py:74:33
	v_perm_b32 v122, v116, v122, s94
	.loc	1 67 20                         ; fp8_utils_aot.py:67:20
	s_waitcnt lgkmcnt(0)
	v_lshlrev_b16_e32 v116, 7, v124
	.loc	1 74 33                         ; fp8_utils_aot.py:74:33
	v_perm_b32 v123, v123, v120, s94
	.loc	1 67 20                         ; fp8_utils_aot.py:67:20
	v_and_b32_e32 v116, 0x3f80, v116
	v_and_b32_e32 v120, 0x7f, v124
	v_add_u16_e32 v116, 0x2000, v116
	v_cmp_ne_u16_e64 s[6:7], s33, v120
	v_cndmask_b32_e64 v116, v193, v116, s[6:7]
	v_cmp_ne_u16_e64 s[6:7], 0, v120
	v_cndmask_b32_e64 v116, 0, v116, s[6:7]
	;; [unrolled: 2-line block ×8, first 2 shown]
	v_cmp_ne_u16_e64 s[6:7], 7, v120
	v_lshlrev_b16_e32 v120, 7, v227
	.loc	1 0 0 is_stmt 0                 ; fp8_utils_aot.py:0
	v_lshrrev_b32_e32 v141, 8, v121
	.loc	1 74 33 is_stmt 1               ; fp8_utils_aot.py:74:33
	v_mfma_f32_32x32x8f16 v[0:15], v[126:127], v[138:139], v[0:15]
	.loc	1 66 20                         ; fp8_utils_aot.py:66:20
	v_lshlrev_b16_e32 v138, 8, v121
	v_and_b32_e32 v180, 0x7f, v121
	v_lshlrev_b16_sdwa v139, v211, v121 dst_sel:DWORD dst_unused:UNUSED_PAD src0_sel:DWORD src1_sel:WORD_1
	v_lshlrev_b16_sdwa v159, v213, v121 dst_sel:DWORD dst_unused:UNUSED_PAD src0_sel:DWORD src1_sel:WORD_1
	v_and_b32_sdwa v176, v121, s33 dst_sel:DWORD dst_unused:UNUSED_PAD src0_sel:WORD_1 src1_sel:DWORD
	v_lshlrev_b16_sdwa v140, v211, v121 dst_sel:DWORD dst_unused:UNUSED_PAD src0_sel:DWORD src1_sel:BYTE_3
	v_and_b32_sdwa v178, v121, s33 dst_sel:DWORD dst_unused:UNUSED_PAD src0_sel:BYTE_3 src1_sel:DWORD
	.loc	1 67 20                         ; fp8_utils_aot.py:67:20
	v_and_b32_e32 v120, 0x3f80, v120
	v_and_b32_e32 v121, 0x7f, v227
	v_add_u16_e32 v120, 0x2000, v120
	v_cmp_ne_u16_e64 s[8:9], s33, v121
	v_cndmask_b32_e64 v120, v193, v120, s[8:9]
	v_cmp_ne_u16_e64 s[8:9], 0, v121
	v_cndmask_b32_e64 v120, 0, v120, s[8:9]
	;; [unrolled: 2-line block ×5, first 2 shown]
	v_cmp_ne_u16_e64 s[8:9], 4, v121
	v_cmp_ne_u16_e64 s[36:37], 5, v121
	;; [unrolled: 1-line block ×4, first 2 shown]
	v_and_b32_e32 v121, 0x7f, v225
	v_cmp_ne_u16_e64 s[42:43], s33, v121
	v_cmp_ne_u16_e64 s[44:45], 0, v121
	;; [unrolled: 1-line block ×9, first 2 shown]
	v_lshlrev_b16_e32 v121, 7, v225
	v_and_b32_e32 v121, 0x3f80, v121
	v_add_u16_e32 v121, 0x2000, v121
	v_cndmask_b32_e64 v121, v193, v121, s[42:43]
	v_cndmask_b32_e64 v121, 0, v121, s[44:45]
	;; [unrolled: 1-line block ×8, first 2 shown]
	v_lshlrev_b16_e32 v125, 8, v225
	v_cndmask_b32_e64 v121, v209, v121, s[76:77]
	v_and_b32_e32 v125, 0xffff8000, v125
	v_or_b32_e32 v125, v121, v125
	ds_read_u8 v121, v162 offset:11520
	v_cndmask_b32_e64 v120, v201, v120, s[8:9]
	v_cndmask_b32_e64 v120, v205, v120, s[36:37]
	.loc	1 74 33                         ; fp8_utils_aot.py:74:33
	v_mfma_f32_32x32x8f16 v[16:31], v[126:127], v[146:147], v[16:31]
	.loc	1 67 20                         ; fp8_utils_aot.py:67:20
	v_cndmask_b32_e64 v120, v207, v120, s[38:39]
	v_lshlrev_b16_e32 v126, 8, v227
	v_and_b32_e32 v126, 0xffff8000, v126
	v_cndmask_b32_e64 v120, v209, v120, s[40:41]
	v_or_b32_e32 v120, v120, v126
	.loc	1 74 33                         ; fp8_utils_aot.py:74:33
	v_perm_b32 v120, v120, v125, s94
	.loc	1 67 20                         ; fp8_utils_aot.py:67:20
	ds_read_u8 v125, v162 offset:12416
	s_waitcnt lgkmcnt(1)
	v_and_b32_e32 v126, 0x7f, v121
	v_cmp_ne_u16_e64 s[8:9], s33, v126
	v_cmp_ne_u16_e64 s[36:37], 0, v126
	;; [unrolled: 1-line block ×9, first 2 shown]
	v_lshlrev_b16_e32 v126, 7, v121
	v_and_b32_e32 v126, 0x3f80, v126
	v_add_u16_e32 v126, 0x2000, v126
	v_cndmask_b32_e64 v126, v193, v126, s[8:9]
	v_cndmask_b32_e64 v126, 0, v126, s[36:37]
	v_cndmask_b32_e64 v126, v195, v126, s[38:39]
	v_cndmask_b32_e64 v126, v197, v126, s[40:41]
	v_cndmask_b32_e64 v126, v199, v126, s[42:43]
	v_cndmask_b32_e64 v126, v201, v126, s[44:45]
	v_cndmask_b32_e64 v126, v205, v126, s[46:47]
	v_cndmask_b32_e64 v126, v207, v126, s[48:49]
	v_lshlrev_b16_e32 v121, 8, v121
	v_and_b32_e32 v121, 0xffff8000, v121
	v_cndmask_b32_e64 v126, v209, v126, s[50:51]
	v_or_b32_e32 v121, v126, v121
	ds_read_u8 v126, v162 offset:12672
	v_lshlrev_b16_e32 v124, 8, v124
	s_waitcnt lgkmcnt(1)
	v_lshlrev_b16_e32 v127, 7, v125
	v_and_b32_e32 v124, 0xffff8000, v124
	v_cndmask_b32_e64 v116, v209, v116, s[6:7]
	.loc	1 74 33                         ; fp8_utils_aot.py:74:33
	v_mfma_f32_32x32x8f16 v[0:15], v[142:143], v[136:137], v[0:15]
	.loc	1 67 20                         ; fp8_utils_aot.py:67:20
	v_and_b32_e32 v127, 0x3f80, v127
	v_and_b32_e32 v136, 0x7f, v125
	v_or_b32_e32 v116, v116, v124
	v_add_u16_e32 v127, 0x2000, v127
	v_cmp_ne_u16_e64 s[40:41], s33, v136
	.loc	1 74 33                         ; fp8_utils_aot.py:74:33
	v_perm_b32 v121, v116, v121, s94
	.loc	1 67 20                         ; fp8_utils_aot.py:67:20
	s_waitcnt lgkmcnt(0)
	v_lshlrev_b16_e32 v116, 7, v126
	v_cndmask_b32_e64 v127, v193, v127, s[40:41]
	v_cmp_ne_u16_e64 s[40:41], 0, v136
	v_and_b32_e32 v116, 0x3f80, v116
	v_and_b32_e32 v124, 0x7f, v126
	v_cndmask_b32_e64 v127, 0, v127, s[40:41]
	v_cmp_ne_u16_e64 s[40:41], 1, v136
	v_add_u16_e32 v116, 0x2000, v116
	v_cmp_ne_u16_e64 s[6:7], s33, v124
	v_cndmask_b32_e64 v127, v195, v127, s[40:41]
	v_cmp_ne_u16_e64 s[40:41], 2, v136
	v_cndmask_b32_e64 v116, v193, v116, s[6:7]
	;; [unrolled: 2-line block ×9, first 2 shown]
	v_cmp_ne_u16_e64 s[40:41], 6, v136
	v_cmp_ne_u16_e64 s[8:9], 4, v124
	;; [unrolled: 1-line block ×4, first 2 shown]
	v_cndmask_b32_e64 v127, v207, v127, s[40:41]
	v_cmp_ne_u16_e64 s[40:41], 7, v124
	ds_read_u8 v124, v162 offset:12288
	v_cndmask_b32_e64 v116, v199, v116, s[6:7]
	v_cndmask_b32_e64 v116, v201, v116, s[8:9]
	;; [unrolled: 1-line block ×4, first 2 shown]
	v_lshlrev_b16_e32 v126, 8, v126
	v_and_b32_e32 v126, 0xffff8000, v126
	v_cndmask_b32_e64 v116, v209, v116, s[40:41]
	v_cmp_ne_u16_e64 s[42:43], 7, v136
	v_or_b32_e32 v116, v116, v126
	ds_read_u8 v126, v162 offset:13696
	s_waitcnt lgkmcnt(1)
	v_and_b32_e32 v136, 0x7f, v124
	v_cmp_ne_u16_e64 s[44:45], s33, v136
	v_cmp_ne_u16_e64 s[46:47], 0, v136
	;; [unrolled: 1-line block ×9, first 2 shown]
	v_lshlrev_b16_e32 v136, 7, v124
	v_and_b32_e32 v136, 0x3f80, v136
	v_add_u16_e32 v136, 0x2000, v136
	v_cndmask_b32_e64 v136, v193, v136, s[44:45]
	v_cndmask_b32_e64 v136, 0, v136, s[46:47]
	;; [unrolled: 1-line block ×8, first 2 shown]
	v_lshlrev_b16_e32 v124, 8, v124
	v_cndmask_b32_e64 v136, v209, v136, s[78:79]
	v_and_b32_e32 v124, 0xffff8000, v124
	v_or_b32_e32 v124, v136, v124
	ds_read_u8 v136, v162 offset:12544
	v_lshlrev_b16_e32 v125, 8, v125
	v_cndmask_b32_e64 v127, v209, v127, s[42:43]
	v_and_b32_e32 v125, 0xffff8000, v125
	v_or_b32_e32 v127, v127, v125
	s_waitcnt lgkmcnt(0)
	v_and_b32_e32 v125, 0x7f, v136
	v_cmp_ne_u16_e64 s[42:43], s33, v125
	v_cmp_ne_u16_e64 s[44:45], 0, v125
	v_cmp_ne_u16_e64 s[46:47], 1, v125
	v_cmp_ne_u16_e64 s[48:49], 2, v125
	v_cmp_ne_u16_e64 s[50:51], 3, v125
	v_cmp_ne_u16_e64 s[58:59], 4, v125
	v_cmp_ne_u16_e64 s[72:73], 5, v125
	v_cmp_ne_u16_e64 s[74:75], 6, v125
	v_cmp_ne_u16_e64 s[76:77], 7, v125
	v_lshlrev_b16_e32 v125, 7, v136
	v_and_b32_e32 v125, 0x3f80, v125
	v_add_u16_e32 v125, 0x2000, v125
	v_cndmask_b32_e64 v125, v193, v125, s[42:43]
	v_cndmask_b32_e64 v125, 0, v125, s[44:45]
	;; [unrolled: 1-line block ×6, first 2 shown]
	.loc	1 74 33                         ; fp8_utils_aot.py:74:33
	v_perm_b32 v124, v127, v124, s94
	.loc	1 67 20                         ; fp8_utils_aot.py:67:20
	v_lshlrev_b16_e32 v127, 7, v126
	v_cndmask_b32_e64 v125, v205, v125, s[72:73]
	.loc	1 74 33                         ; fp8_utils_aot.py:74:33
	v_mfma_f32_32x32x8f16 v[0:15], v[122:123], v[134:135], v[0:15]
	.loc	1 67 20                         ; fp8_utils_aot.py:67:20
	v_and_b32_e32 v127, 0x3f80, v127
	v_and_b32_e32 v134, 0x7f, v126
	v_cndmask_b32_e64 v125, v207, v125, s[74:75]
	v_lshlrev_b16_e32 v136, 8, v136
	v_add_u16_e32 v127, 0x2000, v127
	v_cmp_ne_u16_e64 s[6:7], s33, v134
	v_cndmask_b32_e64 v125, v209, v125, s[76:77]
	v_and_b32_e32 v136, 0xffff8000, v136
	v_cndmask_b32_e64 v127, v193, v127, s[6:7]
	v_cmp_ne_u16_e64 s[6:7], 0, v134
	v_or_b32_e32 v125, v125, v136
	v_cndmask_b32_e64 v127, 0, v127, s[6:7]
	v_cmp_ne_u16_e64 s[6:7], 1, v134
	ds_read_u8 v136, v162 offset:13312
	.loc	1 74 33                         ; fp8_utils_aot.py:74:33
	v_perm_b32 v125, v116, v125, s94
	.loc	1 67 20                         ; fp8_utils_aot.py:67:20
	ds_read_u8 v116, v162 offset:13440
	v_cndmask_b32_e64 v127, v195, v127, s[6:7]
	v_cmp_ne_u16_e64 s[6:7], 2, v134
	v_cndmask_b32_e64 v127, v197, v127, s[6:7]
	v_cmp_ne_u16_e64 s[6:7], 3, v134
	;; [unrolled: 2-line block ×6, first 2 shown]
	s_waitcnt lgkmcnt(0)
	v_lshlrev_b16_e32 v134, 7, v116
	v_and_b32_e32 v134, 0x3f80, v134
	v_and_b32_e32 v135, 0x7f, v116
	v_add_u16_e32 v134, 0x2000, v134
	v_cmp_ne_u16_e64 s[8:9], s33, v135
	v_cndmask_b32_e64 v134, v193, v134, s[8:9]
	v_cmp_ne_u16_e64 s[8:9], 0, v135
	v_cndmask_b32_e64 v134, 0, v134, s[8:9]
	;; [unrolled: 2-line block ×5, first 2 shown]
	v_cmp_ne_u16_e64 s[8:9], 4, v135
	v_cmp_ne_u16_e64 s[36:37], 5, v135
	;; [unrolled: 1-line block ×4, first 2 shown]
	v_and_b32_e32 v135, 0x7f, v136
	v_cmp_ne_u16_e64 s[42:43], s33, v135
	v_cmp_ne_u16_e64 s[44:45], 0, v135
	;; [unrolled: 1-line block ×9, first 2 shown]
	v_lshlrev_b16_e32 v135, 7, v136
	v_and_b32_e32 v135, 0x3f80, v135
	v_add_u16_e32 v135, 0x2000, v135
	v_cndmask_b32_e64 v135, v193, v135, s[42:43]
	v_cndmask_b32_e64 v135, 0, v135, s[44:45]
	;; [unrolled: 1-line block ×8, first 2 shown]
	v_lshlrev_b16_e32 v136, 8, v136
	v_cndmask_b32_e64 v135, v209, v135, s[76:77]
	v_and_b32_e32 v136, 0xffff8000, v136
	v_or_b32_e32 v135, v135, v136
	ds_read_u8 v136, v162 offset:13568
	v_cndmask_b32_e64 v134, v201, v134, s[8:9]
	v_cndmask_b32_e64 v134, v205, v134, s[36:37]
	;; [unrolled: 1-line block ×3, first 2 shown]
	v_lshlrev_b16_e32 v116, 8, v116
	v_and_b32_e32 v116, 0xffff8000, v116
	v_cndmask_b32_e64 v134, v209, v134, s[40:41]
	v_or_b32_e32 v116, v134, v116
	s_waitcnt lgkmcnt(0)
	v_and_b32_e32 v134, 0x7f, v136
	v_cmp_ne_u16_e64 s[8:9], s33, v134
	v_cmp_ne_u16_e64 s[36:37], 0, v134
	;; [unrolled: 1-line block ×9, first 2 shown]
	v_lshlrev_b16_e32 v134, 7, v136
	v_and_b32_e32 v134, 0x3f80, v134
	v_add_u16_e32 v134, 0x2000, v134
	v_cndmask_b32_e64 v134, v193, v134, s[8:9]
	v_cndmask_b32_e64 v134, 0, v134, s[36:37]
	v_cndmask_b32_e64 v134, v195, v134, s[38:39]
	v_cndmask_b32_e64 v134, v197, v134, s[40:41]
	v_cndmask_b32_e64 v134, v199, v134, s[42:43]
	v_cndmask_b32_e64 v134, v201, v134, s[44:45]
	v_cndmask_b32_e64 v134, v205, v134, s[46:47]
	v_cndmask_b32_e64 v134, v207, v134, s[48:49]
	v_lshlrev_b16_e32 v136, 8, v136
	v_lshlrev_b16_e32 v126, 8, v126
	v_and_b32_e32 v136, 0xffff8000, v136
	v_cndmask_b32_e64 v134, v209, v134, s[50:51]
	v_and_b32_e32 v126, 0xffff8000, v126
	v_cndmask_b32_e64 v127, v209, v127, s[6:7]
	v_or_b32_e32 v134, v134, v136
	v_or_b32_e32 v126, v127, v126
	ds_read_u8 v136, v162 offset:14592
	.loc	1 74 33                         ; fp8_utils_aot.py:74:33
	v_perm_b32 v127, v126, v134, s94
	.loc	1 67 20                         ; fp8_utils_aot.py:67:20
	ds_read_u8 v134, v162 offset:14720
	.loc	1 74 33                         ; fp8_utils_aot.py:74:33
	v_mfma_f32_32x32x8f16 v[0:15], v[120:121], v[132:133], v[0:15]
	v_perm_b32 v126, v116, v135, s94
	.loc	1 67 20                         ; fp8_utils_aot.py:67:20
	s_waitcnt lgkmcnt(1)
	v_lshlrev_b16_e32 v116, 7, v136
	v_and_b32_e32 v116, 0x3f80, v116
	s_waitcnt lgkmcnt(0)
	v_lshlrev_b16_e32 v132, 7, v134
	v_and_b32_e32 v132, 0x3f80, v132
	v_and_b32_e32 v133, 0x7f, v134
	v_add_u16_e32 v132, 0x2000, v132
	v_cmp_ne_u16_e64 s[6:7], s33, v133
	v_cndmask_b32_e64 v132, v193, v132, s[6:7]
	v_cmp_ne_u16_e64 s[6:7], 0, v133
	v_cndmask_b32_e64 v132, 0, v132, s[6:7]
	;; [unrolled: 2-line block ×4, first 2 shown]
	v_and_b32_e32 v132, 0x7f, v136
	v_add_u16_e32 v116, 0x2000, v116
	v_cmp_ne_u16_e64 s[40:41], s33, v132
	v_cndmask_b32_e64 v116, v193, v116, s[40:41]
	v_cmp_ne_u16_e64 s[40:41], 0, v132
	v_cndmask_b32_e64 v116, 0, v116, s[40:41]
	;; [unrolled: 2-line block ×7, first 2 shown]
	v_cmp_ne_u16_e64 s[40:41], 6, v132
	v_cmp_ne_u16_e64 s[6:7], 3, v133
	;; [unrolled: 1-line block ×5, first 2 shown]
	v_cndmask_b32_e64 v116, v207, v116, s[40:41]
	v_cmp_ne_u16_e64 s[40:41], 7, v133
	ds_read_u8 v133, v162 offset:14464
	.loc	1 74 33                         ; fp8_utils_aot.py:74:33
	v_mfma_f32_32x32x8f16 v[0:15], v[124:125], v[130:131], v[0:15]
	.loc	1 0 0 is_stmt 0                 ; fp8_utils_aot.py:0
	v_lshrrev_b32_e32 v135, 8, v119
	.loc	1 66 20 is_stmt 1               ; fp8_utils_aot.py:66:20
	v_lshlrev_b16_sdwa v227, v213, v117 dst_sel:DWORD dst_unused:UNUSED_PAD src0_sel:DWORD src1_sel:WORD_1
	v_cmp_ne_u16_e64 s[84:85], s33, v178
	.loc	1 67 20                         ; fp8_utils_aot.py:67:20
	s_waitcnt lgkmcnt(0)
	v_lshlrev_b16_e32 v130, 7, v133
	v_and_b32_e32 v130, 0x3f80, v130
	v_and_b32_e32 v131, 0x7f, v133
	v_add_u16_e32 v130, 0x2000, v130
	v_cmp_ne_u16_e64 s[42:43], s33, v131
	v_cndmask_b32_e64 v130, v193, v130, s[42:43]
	v_cmp_ne_u16_e64 s[42:43], 0, v131
	v_cndmask_b32_e64 v130, 0, v130, s[42:43]
	;; [unrolled: 2-line block ×8, first 2 shown]
	v_cmp_ne_u16_e64 s[42:43], 7, v132
	ds_read_u8 v132, v162 offset:14336
	v_cmp_ne_u16_e64 s[44:45], 7, v131
	.loc	1 74 33                         ; fp8_utils_aot.py:74:33
	v_mfma_f32_32x32x8f16 v[0:15], v[126:127], v[144:145], v[0:15]
	.loc	1 67 20                         ; fp8_utils_aot.py:67:20
	ds_read_u8 v145, v162 offset:15616
	v_cndmask_b32_e64 v130, v209, v130, s[44:45]
	s_waitcnt lgkmcnt(1)
	v_and_b32_e32 v131, 0x7f, v132
	v_cmp_ne_u16_e64 s[46:47], s33, v131
	v_cmp_ne_u16_e64 s[48:49], 0, v131
	;; [unrolled: 1-line block ×9, first 2 shown]
	v_lshlrev_b16_e32 v131, 7, v132
	v_and_b32_e32 v131, 0x3f80, v131
	v_add_u16_e32 v131, 0x2000, v131
	v_cndmask_b32_e64 v131, v193, v131, s[46:47]
	v_cndmask_b32_e64 v131, 0, v131, s[48:49]
	;; [unrolled: 1-line block ×8, first 2 shown]
	v_lshlrev_b16_e32 v132, 8, v132
	v_cndmask_b32_e64 v131, v209, v131, s[80:81]
	v_and_b32_e32 v132, 0xffff8000, v132
	v_or_b32_e32 v146, v131, v132
	v_lshlrev_b16_e32 v131, 8, v133
	v_and_b32_e32 v131, 0xffff8000, v131
	v_or_b32_e32 v130, v130, v131
	v_lshlrev_b16_e32 v131, 8, v136
	v_cndmask_b32_e64 v116, v209, v116, s[42:43]
	v_and_b32_e32 v131, 0xffff8000, v131
	v_or_b32_e32 v116, v116, v131
	v_cndmask_b32_e64 v131, v199, v137, s[6:7]
	v_cndmask_b32_e64 v131, v201, v131, s[8:9]
	;; [unrolled: 1-line block ×4, first 2 shown]
	v_lshlrev_b16_e32 v133, 8, v134
	v_and_b32_e32 v133, 0xffff8000, v133
	v_cndmask_b32_e64 v131, v209, v131, s[40:41]
	v_or_b32_e32 v131, v131, v133
	.loc	1 74 33                         ; fp8_utils_aot.py:74:33
	v_perm_b32 v131, v131, v116, s94
	.loc	1 66 20                         ; fp8_utils_aot.py:66:20
	v_lshlrev_b16_e32 v116, 7, v223
	v_and_b32_e32 v116, 0x3f80, v116
	v_add_u16_e32 v116, 0x2000, v116
	v_cndmask_b32_e64 v116, v193, v116, s[64:65]
	v_cndmask_b32_e64 v116, 0, v116, s[66:67]
	s_movk_i32 s6, 0x7f
	v_cndmask_b32_e64 v116, v195, v116, s[68:69]
	v_lshlrev_b16_e32 v132, 8, v119
	v_lshlrev_b16_sdwa v133, v211, v119 dst_sel:DWORD dst_unused:UNUSED_PAD src0_sel:DWORD src1_sel:WORD_1
	v_and_b32_sdwa v236, v119, s6 dst_sel:DWORD dst_unused:UNUSED_PAD src0_sel:WORD_1 src1_sel:DWORD
	v_lshlrev_b16_sdwa v134, v211, v119 dst_sel:DWORD dst_unused:UNUSED_PAD src0_sel:DWORD src1_sel:BYTE_3
	v_and_b32_sdwa v238, v119, s6 dst_sel:DWORD dst_unused:UNUSED_PAD src0_sel:BYTE_3 src1_sel:DWORD
	v_cndmask_b32_e64 v116, v197, v116, s[70:71]
	v_and_b32_e32 v119, 0x3f80, v166
	v_cndmask_b32_e32 v116, v199, v116, vcc
	v_add_u16_e32 v119, 0x2000, v119
	v_cmp_ne_u16_e32 vcc, s33, v249
	v_cndmask_b32_e32 v119, v193, v119, vcc
	v_cmp_ne_u16_e32 vcc, 0, v249
	v_cndmask_b32_e32 v119, 0, v119, vcc
	;; [unrolled: 2-line block ×3, first 2 shown]
	v_cmp_ne_u16_e32 vcc, 2, v249
	v_cmp_ne_u16_e64 s[36:37], s6, v215
	v_cmp_ne_u16_e64 s[6:7], 7, v215
	v_cndmask_b32_e32 v119, v197, v119, vcc
	v_cmp_ne_u16_e32 vcc, 3, v249
	v_writelane_b32 v253, s6, 24
	v_cndmask_b32_e32 v119, v199, v119, vcc
	v_cmp_ne_u16_e32 vcc, 4, v249
	v_writelane_b32 v253, s7, 25
	v_cmp_ne_u16_e64 s[6:7], 5, v249
	v_cndmask_b32_e32 v119, v201, v119, vcc
	v_cmp_ne_u16_e64 s[8:9], 6, v249
	v_cndmask_b32_e64 v119, v205, v119, s[6:7]
	v_cndmask_b32_e64 v116, v201, v116, s[52:53]
	v_cmp_ne_u16_e64 s[52:53], 7, v249
	v_cndmask_b32_e64 v119, v207, v119, s[8:9]
	v_cndmask_b32_e64 v119, v209, v119, s[52:53]
	.loc	1 74 33                         ; fp8_utils_aot.py:74:33
	v_and_b32_e32 v136, 0xffff8000, v221
	v_or_b32_e32 v137, v119, v136
	.loc	1 66 20                         ; fp8_utils_aot.py:66:20
	v_and_b32_e32 v119, 0x3f80, v172
	v_add_u16_e32 v119, 0x2000, v119
	v_cmp_ne_u16_e32 vcc, s33, v170
	v_cndmask_b32_e32 v119, v193, v119, vcc
	v_cmp_ne_u16_e32 vcc, 0, v170
	v_cndmask_b32_e32 v119, 0, v119, vcc
	;; [unrolled: 2-line block ×5, first 2 shown]
	v_cmp_ne_u16_e32 vcc, 4, v170
	v_cmp_ne_u16_e64 s[6:7], 5, v170
	v_cndmask_b32_e32 v119, v201, v119, vcc
	v_cmp_ne_u16_e64 s[8:9], 6, v170
	v_cndmask_b32_e64 v119, v205, v119, s[6:7]
	v_cmp_ne_u16_e64 s[52:53], 7, v170
	v_cndmask_b32_e64 v119, v207, v119, s[8:9]
	v_cndmask_b32_e64 v119, v209, v119, s[52:53]
	.loc	1 74 33                         ; fp8_utils_aot.py:74:33
	v_and_b32_e32 v136, 0xffff8000, v164
	v_or_b32_e32 v147, v119, v136
	.loc	1 66 20                         ; fp8_utils_aot.py:66:20
	v_and_b32_e32 v136, 0x3f80, v247
	v_add_u16_e32 v136, 0x2000, v136
	v_cmp_ne_u16_e32 vcc, s33, v245
	v_cndmask_b32_e32 v136, v193, v136, vcc
	v_cmp_ne_u16_e32 vcc, 0, v245
	v_cndmask_b32_e32 v136, 0, v136, vcc
	;; [unrolled: 2-line block ×5, first 2 shown]
	v_cmp_ne_u16_e32 vcc, 4, v245
	v_cmp_ne_u16_e64 s[6:7], 5, v245
	v_cndmask_b32_e32 v136, v201, v136, vcc
	v_cmp_ne_u16_e64 s[8:9], 6, v245
	v_cndmask_b32_e64 v136, v205, v136, s[6:7]
	.loc	1 67 20                         ; fp8_utils_aot.py:67:20
	ds_read_u8 v166, v162 offset:15744
	.loc	1 66 20                         ; fp8_utils_aot.py:66:20
	v_cmp_ne_u16_e64 s[52:53], 7, v245
	v_cndmask_b32_e64 v136, v207, v136, s[8:9]
	.loc	1 74 33                         ; fp8_utils_aot.py:74:33
	v_perm_b32 v130, v130, v146, s94
	.loc	1 66 20                         ; fp8_utils_aot.py:66:20
	v_cndmask_b32_e64 v116, v205, v116, s[54:55]
	v_cndmask_b32_e64 v136, v209, v136, s[52:53]
	.loc	1 74 33                         ; fp8_utils_aot.py:74:33
	v_and_b32_e32 v146, 0xffff8000, v163
	.loc	1 66 20                         ; fp8_utils_aot.py:66:20
	v_cndmask_b32_e64 v116, v207, v116, s[56:57]
	.loc	1 74 33                         ; fp8_utils_aot.py:74:33
	v_or_b32_e32 v146, v136, v146
	.loc	1 66 20                         ; fp8_utils_aot.py:66:20
	v_lshlrev_b16_e32 v136, 8, v223
	v_cndmask_b32_e64 v116, v209, v116, s[62:63]
	.loc	1 74 33                         ; fp8_utils_aot.py:74:33
	v_and_b32_e32 v136, 0xffff8000, v136
	v_or_b32_e32 v116, v116, v136
	v_perm_b32 v146, v116, v146, s94
	.loc	1 67 20                         ; fp8_utils_aot.py:67:20
	s_waitcnt lgkmcnt(0)
	v_lshlrev_b16_e32 v116, 7, v166
	.loc	1 0 0 is_stmt 0                 ; fp8_utils_aot.py:0
	v_lshrrev_b32_e32 v144, 8, v117
	.loc	1 66 20 is_stmt 1               ; fp8_utils_aot.py:66:20
	v_lshlrev_b16_e32 v119, 8, v117
	v_and_b32_e32 v163, 0x7f, v117
	v_lshlrev_b16_sdwa v136, v211, v117 dst_sel:DWORD dst_unused:UNUSED_PAD src0_sel:DWORD src1_sel:WORD_1
	.loc	1 74 33                         ; fp8_utils_aot.py:74:33
	v_perm_b32 v147, v147, v137, s94
	.loc	1 66 20                         ; fp8_utils_aot.py:66:20
	v_and_b32_sdwa v249, v117, s33 dst_sel:DWORD dst_unused:UNUSED_PAD src0_sel:WORD_1 src1_sel:DWORD
	v_lshlrev_b16_sdwa v137, v211, v117 dst_sel:DWORD dst_unused:UNUSED_PAD src0_sel:DWORD src1_sel:BYTE_3
	v_and_b32_sdwa v164, v117, s33 dst_sel:DWORD dst_unused:UNUSED_PAD src0_sel:BYTE_3 src1_sel:DWORD
	.loc	1 67 20                         ; fp8_utils_aot.py:67:20
	v_and_b32_e32 v116, 0x3f80, v116
	v_and_b32_e32 v117, 0x7f, v166
	v_add_u16_e32 v116, 0x2000, v116
	v_cmp_ne_u16_e32 vcc, s33, v117
	v_cndmask_b32_e32 v116, v193, v116, vcc
	v_cmp_ne_u16_e32 vcc, 0, v117
	v_cndmask_b32_e32 v116, 0, v116, vcc
	;; [unrolled: 2-line block ×8, first 2 shown]
	v_cmp_ne_u16_e32 vcc, 7, v117
	v_lshlrev_b16_e32 v117, 7, v145
	.loc	1 74 33                         ; fp8_utils_aot.py:74:33
	v_mfma_f32_32x32x8f16 v[16:31], v[142:143], v[146:147], v[16:31]
	.loc	1 67 20                         ; fp8_utils_aot.py:67:20
	v_and_b32_e32 v117, 0x3f80, v117
	v_and_b32_e32 v142, 0x7f, v145
	v_add_u16_e32 v117, 0x2000, v117
	v_cmp_ne_u16_e64 s[6:7], s33, v142
	v_cndmask_b32_e64 v117, v193, v117, s[6:7]
	v_cmp_ne_u16_e64 s[6:7], 0, v142
	v_cndmask_b32_e64 v117, 0, v117, s[6:7]
	;; [unrolled: 2-line block ×5, first 2 shown]
	v_cmp_ne_u16_e64 s[6:7], 4, v142
	v_cmp_ne_u16_e64 s[8:9], 5, v142
	v_cmp_ne_u16_e64 s[52:53], 6, v142
	v_cmp_ne_u16_e64 s[54:55], 7, v142
	ds_read_u8 v142, v162 offset:15360
	.loc	1 74 33                         ; fp8_utils_aot.py:74:33
	v_mfma_f32_32x32x8f16 v[0:15], v[130:131], v[128:129], v[0:15]
	.loc	1 67 20                         ; fp8_utils_aot.py:67:20
	v_cndmask_b32_e64 v117, v201, v117, s[6:7]
	v_cndmask_b32_e64 v117, v205, v117, s[8:9]
	;; [unrolled: 1-line block ×3, first 2 shown]
	s_waitcnt lgkmcnt(0)
	v_lshlrev_b16_e32 v128, 7, v142
	v_and_b32_e32 v128, 0x3f80, v128
	v_and_b32_e32 v129, 0x7f, v142
	v_add_u16_e32 v128, 0x2000, v128
	v_cmp_ne_u16_e64 s[6:7], s33, v129
	v_cndmask_b32_e64 v128, v193, v128, s[6:7]
	v_cmp_ne_u16_e64 s[6:7], 0, v129
	v_cndmask_b32_e64 v128, 0, v128, s[6:7]
	;; [unrolled: 2-line block ×6, first 2 shown]
	v_cmp_ne_u16_e64 s[6:7], 5, v129
	v_cmp_ne_u16_e64 s[8:9], 6, v129
	;; [unrolled: 1-line block ×3, first 2 shown]
	ds_read_u8 v129, v162 offset:15488
	v_cndmask_b32_e64 v128, v205, v128, s[6:7]
	v_cndmask_b32_e64 v128, v207, v128, s[8:9]
	v_lshlrev_b16_e32 v142, 8, v142
	v_and_b32_e32 v142, 0xffff8000, v142
	v_cndmask_b32_e64 v128, v209, v128, s[52:53]
	v_or_b32_e32 v128, v128, v142
	s_waitcnt lgkmcnt(0)
	v_and_b32_e32 v142, 0x7f, v129
	v_cmp_ne_u16_e64 s[6:7], s33, v142
	v_cmp_ne_u16_e64 s[8:9], 0, v142
	v_cmp_ne_u16_e64 s[52:53], 1, v142
	v_cmp_ne_u16_e64 s[56:57], 2, v142
	v_cmp_ne_u16_e64 s[58:59], 3, v142
	v_cmp_ne_u16_e64 s[62:63], 4, v142
	v_cmp_ne_u16_e64 s[64:65], 5, v142
	v_cmp_ne_u16_e64 s[66:67], 6, v142
	v_cmp_ne_u16_e64 s[68:69], 7, v142
	v_lshlrev_b16_e32 v142, 7, v129
	v_and_b32_e32 v142, 0x3f80, v142
	v_add_u16_e32 v142, 0x2000, v142
	v_cndmask_b32_e64 v142, v193, v142, s[6:7]
	v_cndmask_b32_e64 v142, 0, v142, s[8:9]
	;; [unrolled: 1-line block ×8, first 2 shown]
	v_lshlrev_b16_e32 v129, 8, v129
	v_and_b32_e32 v129, 0xffff8000, v129
	v_cndmask_b32_e64 v142, v209, v142, s[68:69]
	v_or_b32_e32 v129, v142, v129
	v_lshlrev_b16_e32 v142, 8, v145
	v_and_b32_e32 v142, 0xffff8000, v142
	v_cndmask_b32_e64 v117, v209, v117, s[54:55]
	v_or_b32_e32 v117, v117, v142
	v_lshlrev_b16_e32 v142, 8, v166
	.loc	1 66 20                         ; fp8_utils_aot.py:66:20
	v_and_b32_e32 v166, 0x7f, v141
	.loc	1 67 20                         ; fp8_utils_aot.py:67:20
	v_cndmask_b32_e32 v116, v209, v116, vcc
	.loc	1 66 20                         ; fp8_utils_aot.py:66:20
	v_cmp_ne_u16_e64 s[52:53], s33, v166
	v_cmp_ne_u16_e64 s[54:55], 0, v166
	;; [unrolled: 1-line block ×4, first 2 shown]
	v_cmp_ne_u16_e32 vcc, 3, v166
	v_cmp_ne_u16_e64 s[62:63], 4, v166
	v_cmp_ne_u16_e64 s[64:65], 5, v166
	;; [unrolled: 1-line block ×4, first 2 shown]
	v_and_b32_e32 v166, 0x3f80, v168
	v_cmp_ne_u16_e64 s[6:7], s33, v155
	v_add_u16_e32 v166, 0x2000, v166
	v_cmp_ne_u16_e64 s[8:9], 0, v155
	v_cndmask_b32_e64 v166, v193, v166, s[6:7]
	v_cndmask_b32_e64 v166, 0, v166, s[8:9]
	v_cmp_ne_u16_e64 s[8:9], 5, v178
	v_writelane_b32 v253, s82, 26
	v_writelane_b32 v255, s8, 0
	;; [unrolled: 1-line block ×3, first 2 shown]
	v_cmp_ne_u16_e64 s[6:7], 7, v180
	v_writelane_b32 v255, s9, 1
	v_cmp_ne_u16_e64 s[8:9], 6, v178
	v_writelane_b32 v253, s6, 28
	v_writelane_b32 v255, s8, 2
	;; [unrolled: 1-line block ×4, first 2 shown]
	v_cmp_ne_u16_e64 s[8:9], 7, v178
	v_writelane_b32 v253, s8, 30
	v_writelane_b32 v253, s9, 31
	v_cmp_ne_u16_e64 s[8:9], s33, v176
	v_writelane_b32 v255, s8, 4
	v_writelane_b32 v255, s9, 5
	;; [unrolled: 3-line block ×5, first 2 shown]
	v_cmp_ne_u16_e64 s[8:9], 3, v176
	v_cmp_ne_u16_e64 s[68:69], 1, v155
	v_writelane_b32 v255, s8, 12
	v_cmp_ne_u16_e64 s[70:71], 2, v155
	v_cndmask_b32_e64 v166, v195, v166, s[68:69]
	v_writelane_b32 v255, s9, 13
	v_cmp_ne_u16_e64 s[8:9], 4, v176
	v_cmp_ne_u16_e64 s[72:73], 3, v155
	v_cndmask_b32_e64 v166, v197, v166, s[70:71]
	v_writelane_b32 v255, s8, 14
	v_cmp_ne_u16_e64 s[74:75], 4, v155
	v_cndmask_b32_e64 v166, v199, v166, s[72:73]
	v_writelane_b32 v255, s9, 15
	v_cmp_ne_u16_e64 s[8:9], 5, v176
	v_cmp_ne_u16_e64 s[76:77], 5, v155
	v_cndmask_b32_e64 v166, v201, v166, s[74:75]
	;; [unrolled: 7-line block ×3, first 2 shown]
	v_writelane_b32 v255, s8, 18
	v_cndmask_b32_e64 v166, v209, v166, s[80:81]
	v_writelane_b32 v255, s9, 19
	v_cmp_ne_u16_e64 s[8:9], 7, v176
	.loc	1 74 33                         ; fp8_utils_aot.py:74:33
	v_or_b32_e32 v158, v166, v158
	.loc	1 66 20                         ; fp8_utils_aot.py:66:20
	v_writelane_b32 v253, s8, 50
	v_and_b32_e32 v166, 0x7f, v135
	v_writelane_b32 v253, s9, 51
	v_cmp_ne_u16_e64 s[8:9], s33, v166
	v_writelane_b32 v255, s8, 20
	v_writelane_b32 v255, s9, 21
	v_cmp_ne_u16_e64 s[8:9], 0, v166
	v_writelane_b32 v255, s8, 22
	;; [unrolled: 3-line block ×21, first 2 shown]
	v_writelane_b32 v255, s9, 57
	v_cmp_ne_u16_e64 s[8:9], 2, v238
	v_and_b32_e32 v168, 0x3f80, v217
	v_writelane_b32 v255, s8, 58
	v_add_u16_e32 v168, 0x2000, v168
	v_cmp_ne_u16_e64 s[86:87], 0, v178
	v_writelane_b32 v255, s9, 59
	v_cmp_ne_u16_e64 s[8:9], 3, v238
	v_cndmask_b32_e64 v168, v193, v168, s[84:85]
	v_cmp_ne_u16_e64 s[88:89], 1, v178
	v_writelane_b32 v255, s8, 60
	v_cndmask_b32_e64 v168, 0, v168, s[86:87]
	v_cmp_ne_u16_e64 s[90:91], 2, v178
	v_writelane_b32 v255, s9, 61
	v_cmp_ne_u16_e64 s[8:9], 4, v238
	v_cndmask_b32_e64 v168, v195, v168, s[88:89]
	v_cmp_ne_u16_e64 s[92:93], 3, v178
	v_writelane_b32 v255, s8, 62
	v_cndmask_b32_e64 v168, v197, v168, s[90:91]
	v_cmp_ne_u16_e64 s[6:7], 4, v178
	v_writelane_b32 v255, s9, 63
	v_cndmask_b32_e64 v168, v199, v168, s[92:93]
	v_cndmask_b32_e64 v168, v201, v168, s[6:7]
	v_readlane_b32 s6, v255, 0
	v_cmp_ne_u16_e64 s[8:9], 5, v238
                                        ; implicit-def: $vgpr254 : SGPR spill to VGPR lane
	v_readlane_b32 s7, v255, 1
	v_writelane_b32 v254, s8, 0
	v_cndmask_b32_e64 v168, v205, v168, s[6:7]
	v_readlane_b32 s6, v255, 2
	v_writelane_b32 v254, s9, 1
	v_cmp_ne_u16_e64 s[8:9], 6, v238
	v_readlane_b32 s7, v255, 3
	v_writelane_b32 v254, s8, 2
	v_cndmask_b32_e64 v168, v207, v168, s[6:7]
	v_and_b32_e32 v159, 0x3f80, v159
	v_readlane_b32 s6, v255, 4
	v_writelane_b32 v254, s9, 3
	v_cmp_ne_u16_e64 s[8:9], 7, v238
	v_add_u16_e32 v159, 0x2000, v159
	v_readlane_b32 s7, v255, 5
	v_writelane_b32 v253, s8, 36
	v_cndmask_b32_e64 v159, v193, v159, s[6:7]
	v_readlane_b32 s6, v255, 6
	v_writelane_b32 v253, s9, 37
	v_cmp_ne_u16_e64 s[8:9], s33, v236
	v_readlane_b32 s7, v255, 7
	v_writelane_b32 v254, s8, 4
	v_cndmask_b32_e64 v159, 0, v159, s[6:7]
	v_readlane_b32 s6, v255, 8
	v_writelane_b32 v254, s9, 5
	v_cmp_ne_u16_e64 s[8:9], 0, v236
	;; [unrolled: 6-line block ×7, first 2 shown]
	v_readlane_b32 s7, v255, 19
	v_lshlrev_b16_e32 v170, 7, v135
	v_writelane_b32 v254, s8, 16
	v_cndmask_b32_e64 v159, v207, v159, s[6:7]
	v_and_b32_e32 v170, 0x3f80, v170
	v_readlane_b32 s6, v255, 20
	v_writelane_b32 v254, s9, 17
	v_cmp_ne_u16_e64 s[8:9], 6, v236
	v_add_u16_e32 v170, 0x2000, v170
	v_readlane_b32 s7, v255, 21
	v_writelane_b32 v254, s8, 18
	v_cndmask_b32_e64 v170, v193, v170, s[6:7]
	v_readlane_b32 s6, v255, 22
	v_writelane_b32 v254, s9, 19
	v_cmp_ne_u16_e64 s[8:9], 7, v236
	v_readlane_b32 s7, v255, 23
	v_writelane_b32 v253, s8, 38
	v_and_b32_e32 v166, 0x7f, v144
	v_cndmask_b32_e64 v170, 0, v170, s[6:7]
	v_readlane_b32 s6, v255, 24
	v_writelane_b32 v253, s9, 39
	v_cmp_ne_u16_e64 s[8:9], s33, v166
	v_readlane_b32 s7, v255, 25
	v_writelane_b32 v254, s8, 20
	v_cndmask_b32_e64 v170, v195, v170, s[6:7]
	v_readlane_b32 s6, v255, 26
	v_writelane_b32 v254, s9, 21
	v_cmp_ne_u16_e64 s[8:9], 0, v166
	v_readlane_b32 s7, v255, 27
	v_writelane_b32 v254, s8, 22
	;; [unrolled: 6-line block ×6, first 2 shown]
	v_cndmask_b32_e64 v170, v207, v170, s[6:7]
	v_and_b32_e32 v172, 0x3f80, v243
	v_readlane_b32 s6, v255, 36
	v_writelane_b32 v254, s9, 31
	v_cmp_ne_u16_e64 s[8:9], 5, v166
	v_add_u16_e32 v172, 0x2000, v172
	v_readlane_b32 s7, v255, 37
	v_writelane_b32 v254, s8, 32
	v_cndmask_b32_e64 v172, v193, v172, s[6:7]
	v_readlane_b32 s6, v255, 38
	v_writelane_b32 v254, s9, 33
	v_cmp_ne_u16_e64 s[8:9], 6, v166
	v_readlane_b32 s7, v255, 39
	v_writelane_b32 v254, s8, 34
	v_cndmask_b32_e64 v172, 0, v172, s[6:7]
	v_readlane_b32 s6, v255, 40
	v_writelane_b32 v254, s9, 35
	v_cmp_ne_u16_e64 s[8:9], 7, v166
	;; [unrolled: 6-line block ×7, first 2 shown]
	v_readlane_b32 s7, v255, 51
	v_writelane_b32 v254, s8, 44
	v_cndmask_b32_e64 v172, v207, v172, s[6:7]
	v_and_b32_e32 v176, 0x3f80, v241
	v_readlane_b32 s6, v255, 52
	v_writelane_b32 v254, s9, 45
	v_cmp_ne_u16_e64 s[8:9], 4, v163
	v_add_u16_e32 v176, 0x2000, v176
	v_readlane_b32 s7, v255, 53
	v_writelane_b32 v254, s8, 46
	v_cndmask_b32_e64 v176, v193, v176, s[6:7]
	v_readlane_b32 s6, v255, 54
	v_writelane_b32 v254, s9, 47
	v_cmp_ne_u16_e64 s[8:9], 5, v163
	v_readlane_b32 s7, v255, 55
	v_writelane_b32 v254, s8, 48
	v_cndmask_b32_e64 v176, 0, v176, s[6:7]
	v_readlane_b32 s6, v255, 56
	v_writelane_b32 v254, s9, 49
	v_cmp_ne_u16_e64 s[8:9], 6, v163
	;; [unrolled: 6-line block ×4, first 2 shown]
	v_readlane_b32 s7, v255, 61
	v_writelane_b32 v254, s8, 52
	v_cndmask_b32_e64 v176, v199, v176, s[6:7]
	v_readlane_b32 s6, v255, 62
	v_writelane_b32 v254, s9, 53
	v_readlane_b32 s7, v255, 63
	v_cndmask_b32_e64 v176, v201, v176, s[6:7]
	v_readlane_b32 s6, v254, 0
	v_readlane_b32 s7, v254, 1
	v_cndmask_b32_e64 v176, v205, v176, s[6:7]
	v_readlane_b32 s6, v254, 2
	v_readlane_b32 s7, v254, 3
	v_cndmask_b32_e64 v176, v207, v176, s[6:7]
	v_and_b32_e32 v178, 0x3f80, v239
	v_readlane_b32 s6, v254, 4
	v_add_u16_e32 v178, 0x2000, v178
	v_readlane_b32 s7, v254, 5
	v_cndmask_b32_e64 v178, v193, v178, s[6:7]
	v_readlane_b32 s6, v254, 6
	v_readlane_b32 s7, v254, 7
	v_cndmask_b32_e64 v178, 0, v178, s[6:7]
	v_readlane_b32 s6, v254, 8
	;; [unrolled: 3-line block ×7, first 2 shown]
	v_cmp_ne_u16_e64 s[68:69], s33, v180
	v_cmp_ne_u16_e64 s[70:71], 0, v180
	;; [unrolled: 1-line block ×8, first 2 shown]
	v_readlane_b32 s7, v254, 19
	v_lshlrev_b16_e32 v180, 7, v144
	v_cndmask_b32_e64 v178, v207, v178, s[6:7]
	v_and_b32_e32 v180, 0x3f80, v180
	v_readlane_b32 s6, v254, 20
	v_add_u16_e32 v180, 0x2000, v180
	v_readlane_b32 s7, v254, 21
	v_cndmask_b32_e64 v180, v193, v180, s[6:7]
	v_readlane_b32 s6, v254, 22
	v_readlane_b32 s7, v254, 23
	v_cndmask_b32_e64 v180, 0, v180, s[6:7]
	v_readlane_b32 s6, v254, 24
	;; [unrolled: 3-line block ×7, first 2 shown]
	v_readlane_b32 s7, v254, 35
	v_cndmask_b32_e64 v180, v207, v180, s[6:7]
	v_and_b32_e32 v217, 0x3f80, v235
	v_readlane_b32 s6, v254, 36
	v_cmp_ne_u16_e64 s[8:9], 0, v164
	v_add_u16_e32 v217, 0x2000, v217
	v_readlane_b32 s7, v254, 37
	v_writelane_b32 v253, s8, 62
	v_cndmask_b32_e64 v217, v193, v217, s[6:7]
	v_readlane_b32 s6, v254, 38
	v_writelane_b32 v253, s9, 63
	v_cmp_ne_u16_e64 s[8:9], 1, v164
	v_readlane_b32 s7, v254, 39
	v_writelane_b32 v253, s8, 60
	v_cndmask_b32_e64 v217, 0, v217, s[6:7]
	v_readlane_b32 s6, v254, 40
	v_writelane_b32 v253, s9, 61
	v_cmp_ne_u16_e64 s[8:9], 2, v164
	;; [unrolled: 6-line block ×7, first 2 shown]
	v_readlane_b32 s7, v254, 51
	v_writelane_b32 v253, s8, 44
	v_and_b32_e32 v166, 0x3f80, v219
	v_cndmask_b32_e64 v217, v207, v217, s[6:7]
	v_and_b32_e32 v219, 0x3f80, v231
	v_readlane_b32 s6, v254, 52
	v_writelane_b32 v253, s9, 45
	v_add_u16_e32 v219, 0x2000, v219
	v_readlane_b32 s7, v254, 53
	v_cndmask_b32_e64 v219, v193, v219, s[6:7]
	v_readlane_b32 s6, v253, 62
	v_readlane_b32 s7, v253, 63
	v_cndmask_b32_e64 v219, 0, v219, s[6:7]
	v_readlane_b32 s6, v253, 60
	v_lshlrev_b16_e32 v163, 7, v118
	v_and_b32_e32 v164, 0x3f80, v251
	v_add_u16_e32 v166, 0x2000, v166
	v_readlane_b32 s7, v253, 61
	v_and_b32_e32 v163, 0x3f80, v163
	v_add_u16_e32 v164, 0x2000, v164
	v_cndmask_b32_e64 v166, v193, v166, s[68:69]
	v_cndmask_b32_e64 v219, v195, v219, s[6:7]
	v_readlane_b32 s6, v253, 56
	v_lshlrev_b16_sdwa v223, v213, v115 dst_sel:DWORD dst_unused:UNUSED_PAD src0_sel:DWORD src1_sel:WORD_1
	v_add_u16_e32 v163, 0x2000, v163
	v_cndmask_b32_e64 v164, v193, v164, s[18:19]
	v_cndmask_b32_e64 v166, 0, v166, s[70:71]
	v_readlane_b32 s7, v253, 57
	v_and_b32_sdwa v237, v115, s33 dst_sel:DWORD dst_unused:UNUSED_PAD src0_sel:WORD_1 src1_sel:DWORD
	v_cndmask_b32_e64 v163, v193, v163, s[60:61]
	v_cndmask_b32_e64 v164, 0, v164, s[20:21]
	;; [unrolled: 1-line block ×4, first 2 shown]
	v_readlane_b32 s6, v253, 54
	v_and_b32_e32 v223, 0x3f80, v223
	v_cndmask_b32_e64 v163, 0, v163, s[0:1]
	v_cndmask_b32_e64 v164, v195, v164, s[22:23]
	;; [unrolled: 1-line block ×3, first 2 shown]
	v_readlane_b32 s7, v253, 55
	v_cmp_ne_u16_e64 s[90:91], s33, v237
	v_add_u16_e32 v223, 0x2000, v223
	v_cndmask_b32_e64 v163, v195, v163, s[2:3]
	v_cndmask_b32_e64 v164, v197, v164, s[24:25]
	;; [unrolled: 1-line block ×4, first 2 shown]
	v_readlane_b32 s6, v253, 52
	v_cmp_ne_u16_e64 s[88:89], 0, v237
	v_cndmask_b32_e64 v223, v193, v223, s[90:91]
	v_cndmask_b32_e64 v163, v197, v163, s[4:5]
	;; [unrolled: 1-line block ×4, first 2 shown]
	v_readlane_b32 s7, v253, 53
	v_cmp_ne_u16_e64 s[86:87], 1, v237
	v_cndmask_b32_e64 v223, 0, v223, s[88:89]
	v_cndmask_b32_e64 v163, v199, v163, s[10:11]
	;; [unrolled: 1-line block ×5, first 2 shown]
	v_readlane_b32 s6, v253, 48
	v_cmp_ne_u16_e64 s[84:85], 2, v237
	v_cndmask_b32_e64 v223, v195, v223, s[86:87]
	.loc	1 0 0 is_stmt 0                 ; fp8_utils_aot.py:0
	v_lshrrev_b32_e32 v147, 8, v115
	.loc	1 66 20                         ; fp8_utils_aot.py:66:20
	v_cndmask_b32_e64 v163, v201, v163, s[12:13]
	v_cndmask_b32_e64 v164, v205, v164, s[30:31]
	;; [unrolled: 1-line block ×3, first 2 shown]
	v_readlane_b32 s7, v253, 49
	v_cmp_ne_u16_e64 s[82:83], 3, v237
	v_cndmask_b32_e64 v223, v197, v223, s[84:85]
	v_cndmask_b32_e64 v163, v205, v163, s[14:15]
	;; [unrolled: 1-line block ×3, first 2 shown]
	v_and_b32_e32 v154, 0x3f80, v154
	v_and_b32_e32 v164, 0x7f, v147
	v_cndmask_b32_e64 v219, v205, v219, s[6:7]
	v_readlane_b32 s6, v253, 46
	v_cmp_ne_u16_e64 s[80:81], 4, v237
	v_cndmask_b32_e64 v223, v199, v223, s[82:83]
	v_cmp_ne_u16_e64 s[38:39], 0, v215
	v_cmp_ne_u16_e64 s[40:41], 1, v215
	;; [unrolled: 1-line block ×7, first 2 shown]
	v_lshlrev_b16_e32 v215, 7, v113
	v_cndmask_b32_e64 v163, v207, v163, s[16:17]
	v_add_u16_e32 v154, 0x2000, v154
	v_cmp_ne_u16_e64 s[22:23], s33, v164
	v_cmp_ne_u16_e64 s[20:21], 0, v164
	;; [unrolled: 1-line block ×9, first 2 shown]
	v_lshlrev_b16_e32 v164, 7, v141
	v_readlane_b32 s7, v253, 47
	v_cmp_ne_u16_e64 s[92:93], 5, v237
	v_cndmask_b32_e64 v223, v201, v223, s[80:81]
	v_and_b32_e32 v221, 0x7f, v113
	v_cndmask_b32_e64 v154, v193, v154, s[36:37]
	v_and_b32_e32 v164, 0x3f80, v164
	v_cndmask_b32_e64 v219, v207, v219, s[6:7]
	v_cmp_ne_u16_e64 s[6:7], 6, v237
	v_cndmask_b32_e64 v223, v205, v223, s[92:93]
	v_and_b32_e32 v215, 0x3f80, v215
	v_cndmask_b32_e64 v154, 0, v154, s[38:39]
	v_add_u16_e32 v164, 0x2000, v164
	v_cndmask_b32_e64 v223, v207, v223, s[6:7]
	v_cmp_ne_u16_e64 s[6:7], s33, v221
	v_add_u16_e32 v215, 0x2000, v215
	v_cndmask_b32_e64 v154, v195, v154, s[40:41]
	v_cndmask_b32_e64 v164, v193, v164, s[52:53]
	;; [unrolled: 1-line block ×3, first 2 shown]
	v_readlane_b32 s6, v253, 32
	v_cndmask_b32_e64 v154, v197, v154, s[42:43]
	v_cndmask_b32_e64 v164, 0, v164, s[54:55]
	v_readlane_b32 s7, v253, 33
	v_cndmask_b32_e64 v154, v199, v154, s[44:45]
	v_cndmask_b32_e64 v164, v195, v164, s[56:57]
	.loc	1 71 22 is_stmt 1               ; fp8_utils_aot.py:71:22
	global_load_dword v108, v[108:109], off
	s_nop 0
	global_load_dword v110, v[110:111], off
	.loc	1 66 20                         ; fp8_utils_aot.py:66:20
	v_cndmask_b32_e64 v111, v209, v163, s[6:7]
	v_readlane_b32 s6, v253, 22
	v_cndmask_b32_e64 v154, v201, v154, s[46:47]
	v_cndmask_b32_e64 v164, v197, v164, s[58:59]
	v_readlane_b32 s7, v253, 23
	v_cndmask_b32_e64 v154, v205, v154, s[48:49]
	v_cndmask_b32_e32 v164, v199, v164, vcc
	v_lshlrev_b16_e32 v109, 8, v118
	v_cndmask_b32_e64 v118, v209, v251, s[6:7]
	v_readlane_b32 s6, v253, 24
	v_cndmask_b32_e64 v154, v207, v154, s[50:51]
	v_cndmask_b32_e64 v164, v201, v164, s[62:63]
	v_readlane_b32 s7, v253, 25
	v_cndmask_b32_e64 v164, v205, v164, s[64:65]
	v_cndmask_b32_e64 v154, v209, v154, s[6:7]
	v_readlane_b32 s6, v253, 26
	v_cndmask_b32_e64 v164, v207, v164, s[66:67]
	v_readlane_b32 s7, v253, 27
	.loc	1 67 20                         ; fp8_utils_aot.py:67:20
	v_and_b32_e32 v142, 0xffff8000, v142
	.loc	1 66 20                         ; fp8_utils_aot.py:66:20
	v_cndmask_b32_e64 v163, v209, v164, s[6:7]
	v_readlane_b32 s6, v253, 28
	.loc	1 67 20                         ; fp8_utils_aot.py:67:20
	v_or_b32_e32 v116, v116, v142
	.loc	1 66 20                         ; fp8_utils_aot.py:66:20
	v_and_b32_e32 v227, 0x3f80, v227
	v_readlane_b32 s7, v253, 29
	.loc	1 74 33                         ; fp8_utils_aot.py:74:33
	v_perm_b32 v117, v116, v117, s94
	v_perm_b32 v116, v129, v128, s94
	.loc	1 66 20                         ; fp8_utils_aot.py:66:20
	v_cmp_ne_u16_e64 s[40:41], s33, v249
	v_add_u16_e32 v227, 0x2000, v227
	v_cndmask_b32_e64 v164, v209, v166, s[6:7]
	v_readlane_b32 s6, v253, 30
	v_cmp_ne_u16_e64 s[38:39], 0, v249
	v_cndmask_b32_e64 v227, v193, v227, s[40:41]
	v_readlane_b32 s7, v253, 31
	v_cmp_ne_u16_e64 s[36:37], 1, v249
	v_cndmask_b32_e64 v227, 0, v227, s[38:39]
	v_cndmask_b32_e64 v166, v209, v168, s[6:7]
	v_readlane_b32 s6, v253, 50
	v_cmp_ne_u16_e64 s[34:35], 2, v249
	v_cndmask_b32_e64 v227, v195, v227, s[36:37]
	v_readlane_b32 s7, v253, 51
	v_cmp_ne_u16_e64 s[30:31], 3, v249
	v_cndmask_b32_e64 v227, v197, v227, s[34:35]
	v_cndmask_b32_e64 v159, v209, v159, s[6:7]
	v_readlane_b32 s6, v253, 58
	.loc	1 74 33                         ; fp8_utils_aot.py:74:33
	v_mfma_f32_32x32x8f16 v[0:15], v[116:117], v[148:149], v[0:15]
	.loc	1 0 0 is_stmt 0                 ; fp8_utils_aot.py:0
	v_lshrrev_b32_e32 v149, 8, v113
	.loc	1 66 20 is_stmt 1               ; fp8_utils_aot.py:66:20
	v_cmp_ne_u16_e64 s[28:29], 4, v249
	v_cndmask_b32_e64 v227, v199, v227, s[30:31]
	v_readlane_b32 s7, v253, 59
	v_cmp_ne_u16_e64 s[26:27], 5, v249
	v_cndmask_b32_e64 v227, v201, v227, s[28:29]
	v_and_b32_e32 v231, 0x7f, v149
	v_cndmask_b32_e64 v168, v209, v170, s[6:7]
	v_readlane_b32 s6, v253, 34
	v_cndmask_b32_e64 v227, v205, v227, s[26:27]
	v_cmp_ne_u16_e64 s[78:79], s33, v231
	v_cmp_ne_u16_e64 s[76:77], 0, v231
	;; [unrolled: 1-line block ×9, first 2 shown]
	v_lshlrev_b16_e32 v231, 7, v147
	v_readlane_b32 s7, v253, 35
	v_lshlrev_b16_e32 v229, 7, v115
	v_and_b32_e32 v231, 0x3f80, v231
	v_cndmask_b32_e64 v170, v209, v172, s[6:7]
	v_readlane_b32 s6, v253, 36
	v_and_b32_e32 v247, 0x7f, v115
	v_add_u16_e32 v231, 0x2000, v231
	v_and_b32_e32 v229, 0x3f80, v229
	v_readlane_b32 s7, v253, 37
	v_cmp_ne_u16_e64 s[58:59], s33, v247
	v_cndmask_b32_e64 v231, v193, v231, s[22:23]
	v_add_u16_e32 v229, 0x2000, v229
	v_cndmask_b32_e64 v172, v209, v176, s[6:7]
	v_readlane_b32 s6, v253, 38
	v_cmp_ne_u16_e64 s[56:57], 0, v247
	v_cndmask_b32_e64 v231, 0, v231, s[20:21]
	v_cndmask_b32_e64 v229, v193, v229, s[58:59]
	v_readlane_b32 s7, v253, 39
	v_cmp_ne_u16_e64 s[54:55], 1, v247
	v_cndmask_b32_e64 v231, v195, v231, s[18:19]
	v_cndmask_b32_e64 v229, 0, v229, s[56:57]
	;; [unrolled: 1-line block ×3, first 2 shown]
	v_readlane_b32 s6, v253, 40
	v_cmp_ne_u16_e64 s[52:53], 2, v247
	v_cndmask_b32_e64 v231, v197, v231, s[16:17]
	v_cndmask_b32_e64 v229, v195, v229, s[54:55]
	v_readlane_b32 s7, v253, 41
	v_cmp_ne_u16_e64 s[50:51], 3, v247
	v_cndmask_b32_e64 v231, v199, v231, s[14:15]
	v_cndmask_b32_e64 v229, v197, v229, s[52:53]
	;; [unrolled: 1-line block ×3, first 2 shown]
	v_readlane_b32 s6, v253, 42
	v_cmp_ne_u16_e64 s[48:49], 4, v247
	v_cndmask_b32_e64 v231, v201, v231, s[12:13]
	v_cndmask_b32_e64 v229, v199, v229, s[50:51]
	v_readlane_b32 s7, v253, 43
	v_cmp_ne_u16_e64 s[24:25], 6, v249
	v_cmp_ne_u16_e64 s[46:47], 5, v247
	v_cndmask_b32_e64 v231, v205, v231, s[10:11]
	v_cndmask_b32_e64 v229, v201, v229, s[48:49]
	;; [unrolled: 1-line block ×3, first 2 shown]
	v_readlane_b32 s6, v253, 44
	v_lshlrev_b16_sdwa v155, v213, v113 dst_sel:DWORD dst_unused:UNUSED_PAD src0_sel:DWORD src1_sel:BYTE_3
	v_cmp_ne_u16_e64 s[0:1], 7, v249
	v_cmp_ne_u16_e64 s[44:45], 6, v247
	v_cndmask_b32_e64 v227, v207, v227, s[24:25]
	v_cndmask_b32_e64 v231, v207, v231, s[4:5]
	;; [unrolled: 1-line block ×3, first 2 shown]
	v_readlane_b32 s7, v253, 45
	v_lshlrev_b16_e32 v128, 8, v115
	v_lshlrev_b16_sdwa v129, v211, v115 dst_sel:DWORD dst_unused:UNUSED_PAD src0_sel:DWORD src1_sel:WORD_1
	v_lshlrev_b16_sdwa v143, v211, v115 dst_sel:DWORD dst_unused:UNUSED_PAD src0_sel:DWORD src1_sel:BYTE_3
	v_lshlrev_b16_sdwa v225, v213, v115 dst_sel:DWORD dst_unused:UNUSED_PAD src0_sel:DWORD src1_sel:BYTE_3
	v_and_b32_sdwa v245, v115, s33 dst_sel:DWORD dst_unused:UNUSED_PAD src0_sel:BYTE_3 src1_sel:DWORD
	v_lshlrev_b16_e32 v142, 8, v113
	v_lshlrev_b16_sdwa v115, v211, v113 dst_sel:DWORD dst_unused:UNUSED_PAD src0_sel:DWORD src1_sel:WORD_1
	v_lshlrev_b16_sdwa v148, v213, v113 dst_sel:DWORD dst_unused:UNUSED_PAD src0_sel:DWORD src1_sel:WORD_1
	v_and_b32_sdwa v146, v113, s33 dst_sel:DWORD dst_unused:UNUSED_PAD src0_sel:WORD_1 src1_sel:DWORD
	v_lshlrev_b16_sdwa v145, v211, v113 dst_sel:DWORD dst_unused:UNUSED_PAD src0_sel:DWORD src1_sel:BYTE_3
	v_and_b32_sdwa v113, v113, s33 dst_sel:DWORD dst_unused:UNUSED_PAD src0_sel:BYTE_3 src1_sel:DWORD
	v_cmp_ne_u16_e32 vcc, 7, v247
	v_cndmask_b32_e64 v229, v207, v229, s[44:45]
	v_cmp_ne_u16_e64 s[22:23], 0, v221
	v_cmp_ne_u16_e64 s[10:11], 1, v221
	;; [unrolled: 1-line block ×8, first 2 shown]
	v_lshlrev_b16_e32 v221, 7, v149
	v_cndmask_b32_e64 v217, v209, v219, s[6:7]
	v_cndmask_b32_e64 v219, v209, v227, s[0:1]
	;; [unrolled: 1-line block ×3, first 2 shown]
	v_lshlrev_b16_e32 v231, 8, v149
	v_and_b32_e32 v149, 0x3f80, v155
	v_cndmask_b32_e32 v229, v209, v229, vcc
	v_and_b32_e32 v148, 0x3f80, v148
	v_add_u16_e32 v149, 0x2000, v149
	v_cmp_ne_u16_e32 vcc, s33, v113
	v_add_u16_e32 v148, 0x2000, v148
	v_cndmask_b32_e32 v149, v193, v149, vcc
	v_cmp_ne_u16_e32 vcc, s33, v146
	.loc	1 74 33                         ; fp8_utils_aot.py:74:33
	v_and_b32_e32 v109, 0xffff8000, v109
	v_and_b32_e32 v112, 0xffff8000, v112
	;; [unrolled: 1-line block ×3, first 2 shown]
	.loc	1 66 20                         ; fp8_utils_aot.py:66:20
	v_cndmask_b32_e32 v155, v193, v148, vcc
	v_cmp_ne_u16_e32 vcc, 0, v113
	.loc	1 74 33                         ; fp8_utils_aot.py:74:33
	v_or_b32_e32 v114, v154, v114
	v_or_b32_e32 v112, v118, v112
	;; [unrolled: 1-line block ×3, first 2 shown]
	.loc	1 66 20                         ; fp8_utils_aot.py:66:20
	v_cndmask_b32_e32 v234, 0, v149, vcc
	.loc	1 74 33                         ; fp8_utils_aot.py:74:33
	v_perm_b32 v148, v109, v112, s94
	v_perm_b32 v149, v114, v158, s94
	.loc	1 66 20                         ; fp8_utils_aot.py:66:20
	v_lshlrev_b16_e32 v141, 8, v141
	.loc	1 74 33                         ; fp8_utils_aot.py:74:33
	v_and_b32_e32 v112, 0xffff8000, v141
	v_mfma_f32_32x32x8f16 v[16:31], v[122:123], v[148:149], v[16:31]
	v_and_b32_e32 v114, 0xffff8000, v138
	v_and_b32_e32 v118, 0xffff8000, v140
	;; [unrolled: 1-line block ×3, first 2 shown]
	v_or_b32_e32 v123, v159, v122
	v_or_b32_e32 v118, v166, v118
	;; [unrolled: 1-line block ×4, first 2 shown]
	v_perm_b32 v122, v112, v114, s94
	v_perm_b32 v123, v118, v123, s94
	.loc	1 66 20                         ; fp8_utils_aot.py:66:20
	v_lshlrev_b16_e32 v135, 8, v135
	.loc	1 74 33                         ; fp8_utils_aot.py:74:33
	v_and_b32_e32 v112, 0xffff8000, v135
	v_and_b32_e32 v114, 0xffff8000, v132
	;; [unrolled: 1-line block ×3, first 2 shown]
	v_or_b32_e32 v118, v172, v118
	v_or_b32_e32 v114, v170, v114
	v_mfma_f32_32x32x8f16 v[16:31], v[120:121], v[122:123], v[16:31]
	v_and_b32_e32 v120, 0xffff8000, v133
	v_or_b32_e32 v121, v176, v120
	v_or_b32_e32 v112, v168, v112
	v_perm_b32 v120, v112, v114, s94
	v_perm_b32 v121, v118, v121, s94
	.loc	1 66 20                         ; fp8_utils_aot.py:66:20
	v_lshlrev_b16_e32 v144, 8, v144
	.loc	1 74 33                         ; fp8_utils_aot.py:74:33
	v_and_b32_e32 v112, 0xffff8000, v144
	v_and_b32_e32 v114, 0xffff8000, v119
	;; [unrolled: 1-line block ×4, first 2 shown]
	v_or_b32_e32 v119, v219, v119
	v_or_b32_e32 v114, v180, v114
	v_or_b32_e32 v112, v178, v112
	.loc	1 66 20                         ; fp8_utils_aot.py:66:20
	v_and_b32_e32 v225, 0x3f80, v225
	v_cmp_ne_u16_e64 s[74:75], s33, v245
	.loc	1 74 33                         ; fp8_utils_aot.py:74:33
	v_mfma_f32_32x32x8f16 v[16:31], v[124:125], v[120:121], v[16:31]
	v_or_b32_e32 v120, v217, v118
	v_perm_b32 v118, v112, v114, s94
	v_perm_b32 v119, v120, v119, s94
	.loc	1 66 20                         ; fp8_utils_aot.py:66:20
	v_add_u16_e32 v225, 0x2000, v225
	v_cmp_ne_u16_e64 s[72:73], 0, v245
	v_cndmask_b32_e64 v225, v193, v225, s[74:75]
	v_cmp_ne_u16_e64 s[70:71], 1, v245
	v_cndmask_b32_e64 v225, 0, v225, s[72:73]
	;; [unrolled: 2-line block ×5, first 2 shown]
	v_cmp_ne_u16_e64 s[62:63], 5, v245
	.loc	1 74 33                         ; fp8_utils_aot.py:74:33
	v_mfma_f32_32x32x8f16 v[16:31], v[126:127], v[118:119], v[16:31]
	.loc	1 66 20                         ; fp8_utils_aot.py:66:20
	v_cndmask_b32_e64 v225, v201, v225, s[64:65]
	v_cmp_ne_u16_e64 s[60:61], 6, v245
	v_cndmask_b32_e64 v225, v205, v225, s[62:63]
	v_cmp_ne_u16_e64 s[42:43], 7, v245
	v_cmp_ne_u16_e64 s[24:25], 7, v237
	v_cndmask_b32_e64 v225, v207, v225, s[60:61]
	v_lshlrev_b16_e32 v147, 8, v147
	v_cndmask_b32_e64 v225, v209, v225, s[42:43]
	v_cndmask_b32_e64 v223, v209, v223, s[24:25]
	.loc	1 74 33                         ; fp8_utils_aot.py:74:33
	v_and_b32_e32 v112, 0xffff8000, v147
	v_and_b32_e32 v114, 0xffff8000, v128
	v_and_b32_e32 v118, 0xffff8000, v143
	v_and_b32_e32 v119, 0xffff8000, v129
	.loc	1 66 20                         ; fp8_utils_aot.py:66:20
	v_cmp_ne_u16_e32 vcc, 0, v146
	.loc	1 74 33                         ; fp8_utils_aot.py:74:33
	v_or_b32_e32 v119, v223, v119
	v_or_b32_e32 v120, v225, v118
	;; [unrolled: 1-line block ×4, first 2 shown]
	.loc	1 66 20                         ; fp8_utils_aot.py:66:20
	v_cndmask_b32_e32 v109, 0, v155, vcc
	v_cmp_ne_u16_e32 vcc, 1, v113
	.loc	1 74 33                         ; fp8_utils_aot.py:74:33
	v_perm_b32 v118, v112, v114, s94
	v_perm_b32 v119, v120, v119, s94
	.loc	1 66 20                         ; fp8_utils_aot.py:66:20
	v_cndmask_b32_e32 v111, v195, v234, vcc
	v_cmp_ne_u16_e32 vcc, 1, v146
	.loc	1 74 33                         ; fp8_utils_aot.py:74:33
	v_mfma_f32_32x32x8f16 v[16:31], v[130:131], v[118:119], v[16:31]
	.loc	1 66 20                         ; fp8_utils_aot.py:66:20
	v_cndmask_b32_e32 v109, v195, v109, vcc
	v_cmp_ne_u16_e32 vcc, 2, v113
	v_cndmask_b32_e32 v111, v197, v111, vcc
	v_cmp_ne_u16_e32 vcc, 2, v146
	v_and_b32_e32 v221, 0x3f80, v221
	v_cndmask_b32_e32 v109, v197, v109, vcc
	v_cmp_ne_u16_e32 vcc, 3, v113
	v_add_u16_e32 v221, 0x2000, v221
	v_cndmask_b32_e32 v111, v199, v111, vcc
	v_cmp_ne_u16_e32 vcc, 3, v146
	v_cndmask_b32_e64 v221, v193, v221, s[78:79]
	v_cndmask_b32_e32 v109, v199, v109, vcc
	v_cmp_ne_u16_e32 vcc, 4, v113
	v_cndmask_b32_e64 v221, 0, v221, s[76:77]
	v_cndmask_b32_e64 v215, 0, v215, s[22:23]
	v_cndmask_b32_e32 v111, v201, v111, vcc
	v_cmp_ne_u16_e32 vcc, 4, v146
	v_cndmask_b32_e64 v221, v195, v221, s[40:41]
	;; [unrolled: 4-line block ×8, first 2 shown]
	v_cndmask_b32_e64 v215, v209, v215, s[4:5]
	v_cndmask_b32_e32 v109, v209, v109, vcc
	.loc	1 74 33                         ; fp8_utils_aot.py:74:33
	v_and_b32_e32 v112, 0xffff8000, v231
	v_and_b32_e32 v113, 0xffff8000, v142
	v_and_b32_e32 v114, 0xffff8000, v145
	v_and_b32_e32 v115, 0xffff8000, v115
	v_or_b32_e32 v109, v109, v115
	v_or_b32_e32 v111, v111, v114
	;; [unrolled: 1-line block ×4, first 2 shown]
	v_perm_b32 v112, v112, v113, s94
	v_perm_b32 v113, v111, v109, s94
	v_readlane_b32 s8, v253, 19
	.loc	1 65 22                         ; fp8_utils_aot.py:65:22
	v_readlane_b32 s0, v253, 10
	.loc	1 74 33                         ; fp8_utils_aot.py:74:33
	v_mfma_f32_32x32x8f16 v[16:31], v[116:117], v[112:113], v[16:31]
	v_readlane_b32 s9, v253, 20
	.loc	1 65 22                         ; fp8_utils_aot.py:65:22
	s_add_u32 s8, s8, s0
	v_readlane_b32 s0, v253, 11
	s_addc_u32 s9, s9, s0
	v_readlane_b32 s58, v253, 15
	v_readlane_b32 s0, v253, 8
	;; [unrolled: 1-line block ×4, first 2 shown]
	s_add_u32 s58, s58, s0
	v_readlane_b32 s0, v253, 9
	v_readlane_b32 s4, v253, 18
	;; [unrolled: 1-line block ×3, first 2 shown]
	.loc	1 74 38                         ; fp8_utils_aot.py:74:38
	s_waitcnt vmcnt(1)
	v_pk_mul_f32 v[0:1], v[108:109], v[0:1] op_sel_hi:[0,1]
	v_pk_mul_f32 v[2:3], v[108:109], v[2:3] op_sel_hi:[0,1]
	;; [unrolled: 1-line block ×8, first 2 shown]
	s_waitcnt vmcnt(0)
	v_pk_mul_f32 v[16:17], v[110:111], v[16:17] op_sel_hi:[0,1]
	v_pk_mul_f32 v[18:19], v[110:111], v[18:19] op_sel_hi:[0,1]
	;; [unrolled: 1-line block ×8, first 2 shown]
	.loc	1 65 22                         ; fp8_utils_aot.py:65:22
	s_addc_u32 s59, s59, s0
	s_add_i32 s4, s4, -1
	s_addk_i32 s61, 0x80
	s_addk_i32 s60, 0xff80
	.loc	1 74 23                         ; fp8_utils_aot.py:74:23
	v_pk_fma_f32 v[232:233], v[94:95], v[0:1], v[232:233]
	v_pk_fma_f32 v[202:203], v[96:97], v[2:3], v[202:203]
	;; [unrolled: 1-line block ×15, first 2 shown]
	.loc	1 65 22                         ; fp8_utils_aot.py:65:22
	s_cmp_lg_u32 s4, 0
	.loc	1 74 23                         ; fp8_utils_aot.py:74:23
	v_pk_fma_f32 v[68:69], v[92:93], v[30:31], v[68:69]
	.loc	1 65 22                         ; fp8_utils_aot.py:65:22
	s_cbranch_scc0 .LBB0_195
.LBB0_3:                                ; =>This Inner Loop Header: Depth=1
	.loc	1 66 51                         ; fp8_utils_aot.py:66:51
	v_cmp_gt_i32_e32 vcc, s60, v160
	v_mov_b32_e32 v1, 0
	.loc	1 66 20 is_stmt 0               ; fp8_utils_aot.py:66:20
	s_and_saveexec_b64 s[2:3], vcc
	s_cbranch_execz .LBB0_5
; %bb.4:                                ;   in Loop: Header=BB0_3 Depth=1
	.loc	1 0 20                          ; fp8_utils_aot.py:0:20
	v_accvgpr_read_b32 v4, a146
	.loc	1 66 59                         ; fp8_utils_aot.py:66:59
	v_mov_b32_e32 v2, s59
	v_add_co_u32_e64 v0, s[0:1], s58, v4
	.loc	1 57 18 is_stmt 1               ; fp8_utils_aot.py:57:18
	v_ashrrev_i32_e32 v1, 31, v4
	.loc	1 66 59                         ; fp8_utils_aot.py:66:59
	v_addc_co_u32_e64 v1, s[0:1], v2, v1, s[0:1]
	.loc	1 66 20 is_stmt 0               ; fp8_utils_aot.py:66:20
	global_load_ubyte v1, v[0:1], off
.LBB0_5:                                ;   in Loop: Header=BB0_3 Depth=1
	.loc	1 0 20                          ; fp8_utils_aot.py:0:20
	s_or_b64 exec, exec, s[2:3]
	v_mov_b32_e32 v2, 0
	v_mov_b32_e32 v3, 0
	.loc	1 66 20                         ; fp8_utils_aot.py:66:20
	s_and_saveexec_b64 s[2:3], vcc
	s_cbranch_execz .LBB0_7
; %bb.6:                                ;   in Loop: Header=BB0_3 Depth=1
	.loc	1 0 20                          ; fp8_utils_aot.py:0:20
	v_accvgpr_read_b32 v6, a144
	.loc	1 66 59                         ; fp8_utils_aot.py:66:59
	v_mov_b32_e32 v0, s59
	v_add_co_u32_e64 v4, s[0:1], s58, v6
	.loc	1 57 18 is_stmt 1               ; fp8_utils_aot.py:57:18
	v_ashrrev_i32_e32 v3, 31, v6
	.loc	1 66 59                         ; fp8_utils_aot.py:66:59
	v_addc_co_u32_e64 v5, s[0:1], v0, v3, s[0:1]
	.loc	1 66 20 is_stmt 0               ; fp8_utils_aot.py:66:20
	global_load_ubyte v3, v[4:5], off
.LBB0_7:                                ;   in Loop: Header=BB0_3 Depth=1
	.loc	1 0 20                          ; fp8_utils_aot.py:0:20
	s_or_b64 exec, exec, s[2:3]
	.loc	1 66 20                         ; fp8_utils_aot.py:66:20
	s_and_saveexec_b64 s[2:3], vcc
	s_cbranch_execz .LBB0_9
; %bb.8:                                ;   in Loop: Header=BB0_3 Depth=1
	.loc	1 0 20                          ; fp8_utils_aot.py:0:20
	v_accvgpr_read_b32 v2, a142
	.loc	1 66 59                         ; fp8_utils_aot.py:66:59
	v_mov_b32_e32 v0, s59
	v_add_co_u32_e64 v4, s[0:1], s58, v2
	.loc	1 57 18 is_stmt 1               ; fp8_utils_aot.py:57:18
	v_ashrrev_i32_e32 v5, 31, v2
	.loc	1 66 59                         ; fp8_utils_aot.py:66:59
	v_addc_co_u32_e64 v5, s[0:1], v0, v5, s[0:1]
	.loc	1 66 20 is_stmt 0               ; fp8_utils_aot.py:66:20
	global_load_ubyte v2, v[4:5], off
.LBB0_9:                                ;   in Loop: Header=BB0_3 Depth=1
	.loc	1 0 20                          ; fp8_utils_aot.py:0:20
	s_or_b64 exec, exec, s[2:3]
	v_mov_b32_e32 v4, 0
	v_mov_b32_e32 v5, 0
	.loc	1 66 20                         ; fp8_utils_aot.py:66:20
	s_and_saveexec_b64 s[2:3], vcc
	s_cbranch_execz .LBB0_11
; %bb.10:                               ;   in Loop: Header=BB0_3 Depth=1
	.loc	1 0 20                          ; fp8_utils_aot.py:0:20
	v_accvgpr_read_b32 v8, a140
	.loc	1 66 59                         ; fp8_utils_aot.py:66:59
	v_mov_b32_e32 v0, s59
	v_add_co_u32_e64 v6, s[0:1], s58, v8
	.loc	1 57 18 is_stmt 1               ; fp8_utils_aot.py:57:18
	v_ashrrev_i32_e32 v5, 31, v8
	.loc	1 66 59                         ; fp8_utils_aot.py:66:59
	v_addc_co_u32_e64 v7, s[0:1], v0, v5, s[0:1]
	.loc	1 66 20 is_stmt 0               ; fp8_utils_aot.py:66:20
	global_load_ubyte v5, v[6:7], off
.LBB0_11:                               ;   in Loop: Header=BB0_3 Depth=1
	.loc	1 0 20                          ; fp8_utils_aot.py:0:20
	s_or_b64 exec, exec, s[2:3]
	.loc	1 66 20                         ; fp8_utils_aot.py:66:20
	s_and_saveexec_b64 s[2:3], vcc
	s_cbranch_execz .LBB0_13
; %bb.12:                               ;   in Loop: Header=BB0_3 Depth=1
	.loc	1 0 20                          ; fp8_utils_aot.py:0:20
	v_accvgpr_read_b32 v4, a138
	.loc	1 66 59                         ; fp8_utils_aot.py:66:59
	v_mov_b32_e32 v0, s59
	v_add_co_u32_e64 v6, s[0:1], s58, v4
	.loc	1 57 18 is_stmt 1               ; fp8_utils_aot.py:57:18
	v_ashrrev_i32_e32 v7, 31, v4
	.loc	1 66 59                         ; fp8_utils_aot.py:66:59
	v_addc_co_u32_e64 v7, s[0:1], v0, v7, s[0:1]
	.loc	1 66 20 is_stmt 0               ; fp8_utils_aot.py:66:20
	global_load_ubyte v4, v[6:7], off
.LBB0_13:                               ;   in Loop: Header=BB0_3 Depth=1
	.loc	1 0 20                          ; fp8_utils_aot.py:0:20
	s_or_b64 exec, exec, s[2:3]
	v_mov_b32_e32 v6, 0
	v_mov_b32_e32 v7, 0
	.loc	1 66 20                         ; fp8_utils_aot.py:66:20
	s_and_saveexec_b64 s[2:3], vcc
	s_cbranch_execz .LBB0_15
; %bb.14:                               ;   in Loop: Header=BB0_3 Depth=1
	.loc	1 0 20                          ; fp8_utils_aot.py:0:20
	v_accvgpr_read_b32 v10, a136
	.loc	1 66 59                         ; fp8_utils_aot.py:66:59
	v_mov_b32_e32 v0, s59
	v_add_co_u32_e64 v8, s[0:1], s58, v10
	.loc	1 57 18 is_stmt 1               ; fp8_utils_aot.py:57:18
	v_ashrrev_i32_e32 v7, 31, v10
	.loc	1 66 59                         ; fp8_utils_aot.py:66:59
	v_addc_co_u32_e64 v9, s[0:1], v0, v7, s[0:1]
	.loc	1 66 20 is_stmt 0               ; fp8_utils_aot.py:66:20
	global_load_ubyte v7, v[8:9], off
.LBB0_15:                               ;   in Loop: Header=BB0_3 Depth=1
	.loc	1 0 20                          ; fp8_utils_aot.py:0:20
	s_or_b64 exec, exec, s[2:3]
	.loc	1 66 20                         ; fp8_utils_aot.py:66:20
	s_and_saveexec_b64 s[2:3], vcc
	s_cbranch_execz .LBB0_17
; %bb.16:                               ;   in Loop: Header=BB0_3 Depth=1
	.loc	1 0 20                          ; fp8_utils_aot.py:0:20
	v_accvgpr_read_b32 v6, a134
	.loc	1 66 59                         ; fp8_utils_aot.py:66:59
	v_mov_b32_e32 v0, s59
	v_add_co_u32_e64 v8, s[0:1], s58, v6
	.loc	1 57 18 is_stmt 1               ; fp8_utils_aot.py:57:18
	v_ashrrev_i32_e32 v9, 31, v6
	.loc	1 66 59                         ; fp8_utils_aot.py:66:59
	v_addc_co_u32_e64 v9, s[0:1], v0, v9, s[0:1]
	.loc	1 66 20 is_stmt 0               ; fp8_utils_aot.py:66:20
	global_load_ubyte v6, v[8:9], off
.LBB0_17:                               ;   in Loop: Header=BB0_3 Depth=1
	;; [unrolled: 38-line block ×14, first 2 shown]
	.loc	1 0 20                          ; fp8_utils_aot.py:0:20
	s_or_b64 exec, exec, s[2:3]
	v_mov_b32_e32 v0, 0
	v_mov_b32_e32 v92, 0
	.loc	1 66 20                         ; fp8_utils_aot.py:66:20
	s_and_saveexec_b64 s[0:1], vcc
	s_cbranch_execz .LBB0_67
; %bb.66:                               ;   in Loop: Header=BB0_3 Depth=1
	.loc	1 0 20                          ; fp8_utils_aot.py:0:20
	v_accvgpr_read_b32 v96, a84
	.loc	1 66 59                         ; fp8_utils_aot.py:66:59
	v_mov_b32_e32 v94, s59
	v_add_co_u32_e32 v92, vcc, s58, v96
	.loc	1 57 18 is_stmt 1               ; fp8_utils_aot.py:57:18
	v_ashrrev_i32_e32 v93, 31, v96
	.loc	1 66 59                         ; fp8_utils_aot.py:66:59
	v_addc_co_u32_e32 v93, vcc, v94, v93, vcc
	.loc	1 66 20 is_stmt 0               ; fp8_utils_aot.py:66:20
	global_load_ubyte v92, v[92:93], off
.LBB0_67:                               ;   in Loop: Header=BB0_3 Depth=1
	.loc	1 0 20                          ; fp8_utils_aot.py:0:20
	s_or_b64 exec, exec, s[0:1]
	.loc	1 66 20                         ; fp8_utils_aot.py:66:20
	s_waitcnt lgkmcnt(0)
	s_barrier
	s_waitcnt vmcnt(0)
	ds_write_b8 v33, v1
	ds_write_b8 v33, v9 offset:2048
	ds_write_b8 v33, v17 offset:4096
	;; [unrolled: 1-line block ×31, first 2 shown]
	v_add_u32_e32 v1, 0x1000, v49
	s_waitcnt lgkmcnt(0)
	s_barrier
	ds_read2_b32 v[126:127], v1 offset1:16
	ds_read2_b32 v[140:141], v51 offset1:16
	v_add_u32_e32 v1, 0x1000, v51
	ds_read2_b32 v[124:125], v1 offset1:16
	ds_read2_b32 v[138:139], v53 offset1:16
	v_add_u32_e32 v1, 0x1000, v53
	;; [unrolled: 3-line block ×7, first 2 shown]
	ds_read2_b32 v[142:143], v49 offset1:16
	ds_read2_b32 v[112:113], v1 offset1:16
	.loc	1 67 51 is_stmt 1               ; fp8_utils_aot.py:67:51
	v_cmp_gt_i32_e32 vcc, s60, v161
	.loc	1 67 20 is_stmt 0               ; fp8_utils_aot.py:67:20
	s_and_saveexec_b64 s[0:1], vcc
	s_cbranch_execz .LBB0_69
; %bb.68:                               ;   in Loop: Header=BB0_3 Depth=1
	.loc	1 0 20                          ; fp8_utils_aot.py:0:20
	v_accvgpr_read_b32 v4, a148
	.loc	1 66 59 is_stmt 1               ; fp8_utils_aot.py:66:59
	v_mov_b32_e32 v2, s9
	v_add_co_u32_e32 v0, vcc, s8, v4
	.loc	1 58 18                         ; fp8_utils_aot.py:58:18
	v_ashrrev_i32_e32 v1, 31, v4
	.loc	1 66 59                         ; fp8_utils_aot.py:66:59
	v_addc_co_u32_e32 v1, vcc, v2, v1, vcc
	.loc	1 67 20                         ; fp8_utils_aot.py:67:20
	global_load_ubyte v0, v[0:1], off
.LBB0_69:                               ;   in Loop: Header=BB0_3 Depth=1
	.loc	1 0 20 is_stmt 0                ; fp8_utils_aot.py:0:20
	s_or_b64 exec, exec, s[0:1]
	v_accvgpr_read_b32 v1, a83
	.loc	1 67 51                         ; fp8_utils_aot.py:67:51
	v_cmp_gt_i32_e32 vcc, s60, v1
	v_mov_b32_e32 v1, 0
	v_mov_b32_e32 v2, 0
	.loc	1 67 20                         ; fp8_utils_aot.py:67:20
	s_and_saveexec_b64 s[0:1], vcc
	s_cbranch_execz .LBB0_71
; %bb.70:                               ;   in Loop: Header=BB0_3 Depth=1
	.loc	1 66 59 is_stmt 1               ; fp8_utils_aot.py:66:59
	v_mov_b32_e32 v4, s9
	v_add_co_u32_e32 v2, vcc, s8, v90
	.loc	1 65 22                         ; fp8_utils_aot.py:65:22
	v_ashrrev_i32_e32 v3, 31, v90
	.loc	1 66 59                         ; fp8_utils_aot.py:66:59
	v_addc_co_u32_e32 v3, vcc, v4, v3, vcc
	.loc	1 67 20                         ; fp8_utils_aot.py:67:20
	global_load_ubyte v2, v[2:3], off
.LBB0_71:                               ;   in Loop: Header=BB0_3 Depth=1
	.loc	1 0 20 is_stmt 0                ; fp8_utils_aot.py:0:20
	s_or_b64 exec, exec, s[0:1]
	v_accvgpr_read_b32 v3, a82
	.loc	1 67 51                         ; fp8_utils_aot.py:67:51
	v_cmp_gt_i32_e32 vcc, s60, v3
	.loc	1 67 20                         ; fp8_utils_aot.py:67:20
	s_and_saveexec_b64 s[0:1], vcc
	s_cbranch_execz .LBB0_73
; %bb.72:                               ;   in Loop: Header=BB0_3 Depth=1
	.loc	1 66 59 is_stmt 1               ; fp8_utils_aot.py:66:59
	v_mov_b32_e32 v3, s9
	v_add_co_u32_e32 v4, vcc, s8, v88
	.loc	1 65 22                         ; fp8_utils_aot.py:65:22
	v_ashrrev_i32_e32 v1, 31, v88
	.loc	1 66 59                         ; fp8_utils_aot.py:66:59
	v_addc_co_u32_e32 v5, vcc, v3, v1, vcc
	.loc	1 67 20                         ; fp8_utils_aot.py:67:20
	global_load_ubyte v1, v[4:5], off
.LBB0_73:                               ;   in Loop: Header=BB0_3 Depth=1
	.loc	1 0 20 is_stmt 0                ; fp8_utils_aot.py:0:20
	s_or_b64 exec, exec, s[0:1]
	v_accvgpr_read_b32 v3, a81
	.loc	1 67 51                         ; fp8_utils_aot.py:67:51
	v_cmp_gt_i32_e32 vcc, s60, v3
	v_mov_b32_e32 v3, 0
	v_mov_b32_e32 v4, 0
	.loc	1 67 20                         ; fp8_utils_aot.py:67:20
	s_and_saveexec_b64 s[0:1], vcc
	s_cbranch_execz .LBB0_75
; %bb.74:                               ;   in Loop: Header=BB0_3 Depth=1
	.loc	1 66 59 is_stmt 1               ; fp8_utils_aot.py:66:59
	v_mov_b32_e32 v6, s9
	v_add_co_u32_e32 v4, vcc, s8, v66
	.loc	1 65 22                         ; fp8_utils_aot.py:65:22
	v_ashrrev_i32_e32 v5, 31, v66
	.loc	1 66 59                         ; fp8_utils_aot.py:66:59
	v_addc_co_u32_e32 v5, vcc, v6, v5, vcc
	.loc	1 67 20                         ; fp8_utils_aot.py:67:20
	global_load_ubyte v4, v[4:5], off
.LBB0_75:                               ;   in Loop: Header=BB0_3 Depth=1
	.loc	1 0 20 is_stmt 0                ; fp8_utils_aot.py:0:20
	s_or_b64 exec, exec, s[0:1]
	v_accvgpr_read_b32 v5, a80
	.loc	1 67 51                         ; fp8_utils_aot.py:67:51
	v_cmp_gt_i32_e32 vcc, s60, v5
	.loc	1 67 20                         ; fp8_utils_aot.py:67:20
	s_and_saveexec_b64 s[0:1], vcc
	s_cbranch_execz .LBB0_77
; %bb.76:                               ;   in Loop: Header=BB0_3 Depth=1
	.loc	1 66 59 is_stmt 1               ; fp8_utils_aot.py:66:59
	v_mov_b32_e32 v5, s9
	v_add_co_u32_e32 v6, vcc, s8, v64
	.loc	1 65 22                         ; fp8_utils_aot.py:65:22
	v_ashrrev_i32_e32 v3, 31, v64
	.loc	1 66 59                         ; fp8_utils_aot.py:66:59
	v_addc_co_u32_e32 v7, vcc, v5, v3, vcc
	.loc	1 67 20                         ; fp8_utils_aot.py:67:20
	global_load_ubyte v3, v[6:7], off
.LBB0_77:                               ;   in Loop: Header=BB0_3 Depth=1
	;; [unrolled: 40-line block ×7, first 2 shown]
	.loc	1 0 20 is_stmt 0                ; fp8_utils_aot.py:0:20
	s_or_b64 exec, exec, s[0:1]
	v_accvgpr_read_b32 v7, a69
	.loc	1 67 51                         ; fp8_utils_aot.py:67:51
	v_cmp_gt_i32_e32 vcc, s60, v7
	v_mov_b32_e32 v17, 0
	v_mov_b32_e32 v19, 0
	.loc	1 67 20                         ; fp8_utils_aot.py:67:20
	s_and_saveexec_b64 s[0:1], vcc
	s_cbranch_execz .LBB0_99
; %bb.98:                               ;   in Loop: Header=BB0_3 Depth=1
	.loc	1 66 59 is_stmt 1               ; fp8_utils_aot.py:66:59
	v_mov_b32_e32 v13, s9
	v_add_co_u32_e32 v18, vcc, s8, v42
	.loc	1 65 22                         ; fp8_utils_aot.py:65:22
	v_ashrrev_i32_e32 v7, 31, v42
	.loc	1 66 59                         ; fp8_utils_aot.py:66:59
	v_addc_co_u32_e32 v19, vcc, v13, v7, vcc
	.loc	1 67 20                         ; fp8_utils_aot.py:67:20
	global_load_ubyte v19, v[18:19], off
.LBB0_99:                               ;   in Loop: Header=BB0_3 Depth=1
	.loc	1 0 20 is_stmt 0                ; fp8_utils_aot.py:0:20
	s_or_b64 exec, exec, s[0:1]
	v_accvgpr_read_b32 v7, a68
	.loc	1 67 51                         ; fp8_utils_aot.py:67:51
	v_cmp_gt_i32_e32 vcc, s60, v7
	.loc	1 67 20                         ; fp8_utils_aot.py:67:20
	s_and_saveexec_b64 s[0:1], vcc
	s_cbranch_execz .LBB0_101
; %bb.100:                              ;   in Loop: Header=BB0_3 Depth=1
	.loc	1 66 59 is_stmt 1               ; fp8_utils_aot.py:66:59
	v_mov_b32_e32 v13, s9
	v_add_co_u32_e32 v20, vcc, s8, v40
	.loc	1 65 22                         ; fp8_utils_aot.py:65:22
	v_ashrrev_i32_e32 v7, 31, v40
	.loc	1 66 59                         ; fp8_utils_aot.py:66:59
	v_addc_co_u32_e32 v21, vcc, v13, v7, vcc
	.loc	1 67 20                         ; fp8_utils_aot.py:67:20
	global_load_ubyte v17, v[20:21], off
.LBB0_101:                              ;   in Loop: Header=BB0_3 Depth=1
	.loc	1 0 20 is_stmt 0                ; fp8_utils_aot.py:0:20
	s_or_b64 exec, exec, s[0:1]
	v_accvgpr_read_b32 v7, a67
	.loc	1 67 51                         ; fp8_utils_aot.py:67:51
	v_cmp_gt_i32_e32 vcc, s60, v7
	v_mov_b32_e32 v20, 0
	v_mov_b32_e32 v21, 0
	.loc	1 67 20                         ; fp8_utils_aot.py:67:20
	s_and_saveexec_b64 s[0:1], vcc
	s_cbranch_execz .LBB0_103
; %bb.102:                              ;   in Loop: Header=BB0_3 Depth=1
	.loc	1 66 59 is_stmt 1               ; fp8_utils_aot.py:66:59
	v_mov_b32_e32 v13, s9
	v_add_co_u32_e32 v22, vcc, s8, v38
	.loc	1 65 22                         ; fp8_utils_aot.py:65:22
	v_ashrrev_i32_e32 v7, 31, v38
	.loc	1 66 59                         ; fp8_utils_aot.py:66:59
	v_addc_co_u32_e32 v23, vcc, v13, v7, vcc
	.loc	1 67 20                         ; fp8_utils_aot.py:67:20
	global_load_ubyte v21, v[22:23], off
.LBB0_103:                              ;   in Loop: Header=BB0_3 Depth=1
	.loc	1 0 20 is_stmt 0                ; fp8_utils_aot.py:0:20
	s_or_b64 exec, exec, s[0:1]
	v_accvgpr_read_b32 v7, a66
	.loc	1 67 51                         ; fp8_utils_aot.py:67:51
	v_cmp_gt_i32_e32 vcc, s60, v7
	.loc	1 67 20                         ; fp8_utils_aot.py:67:20
	s_and_saveexec_b64 s[0:1], vcc
	s_cbranch_execz .LBB0_105
; %bb.104:                              ;   in Loop: Header=BB0_3 Depth=1
	.loc	1 66 59 is_stmt 1               ; fp8_utils_aot.py:66:59
	v_mov_b32_e32 v13, s9
	v_add_co_u32_e32 v22, vcc, s8, v36
	.loc	1 65 22                         ; fp8_utils_aot.py:65:22
	v_ashrrev_i32_e32 v7, 31, v36
	.loc	1 66 59                         ; fp8_utils_aot.py:66:59
	v_addc_co_u32_e32 v23, vcc, v13, v7, vcc
	.loc	1 67 20                         ; fp8_utils_aot.py:67:20
	global_load_ubyte v20, v[22:23], off
.LBB0_105:                              ;   in Loop: Header=BB0_3 Depth=1
	.loc	1 0 20 is_stmt 0                ; fp8_utils_aot.py:0:20
	s_or_b64 exec, exec, s[0:1]
	v_accvgpr_read_b32 v7, a65
	.loc	1 67 51                         ; fp8_utils_aot.py:67:51
	v_cmp_gt_i32_e32 vcc, s60, v7
	v_mov_b32_e32 v22, 0
	v_mov_b32_e32 v23, 0
	.loc	1 67 20                         ; fp8_utils_aot.py:67:20
	s_and_saveexec_b64 s[0:1], vcc
	s_cbranch_execz .LBB0_107
; %bb.106:                              ;   in Loop: Header=BB0_3 Depth=1
	.loc	1 66 59 is_stmt 1               ; fp8_utils_aot.py:66:59
	v_mov_b32_e32 v13, s9
	v_add_co_u32_e32 v24, vcc, s8, v34
	.loc	1 65 22                         ; fp8_utils_aot.py:65:22
	v_ashrrev_i32_e32 v7, 31, v34
	.loc	1 66 59                         ; fp8_utils_aot.py:66:59
	v_addc_co_u32_e32 v25, vcc, v13, v7, vcc
	.loc	1 67 20                         ; fp8_utils_aot.py:67:20
	global_load_ubyte v23, v[24:25], off
.LBB0_107:                              ;   in Loop: Header=BB0_3 Depth=1
	.loc	1 0 20 is_stmt 0                ; fp8_utils_aot.py:0:20
	s_or_b64 exec, exec, s[0:1]
	v_accvgpr_read_b32 v7, a64
	.loc	1 67 51                         ; fp8_utils_aot.py:67:51
	v_cmp_gt_i32_e32 vcc, s60, v7
	.loc	1 67 20                         ; fp8_utils_aot.py:67:20
	s_and_saveexec_b64 s[0:1], vcc
	s_cbranch_execz .LBB0_109
; %bb.108:                              ;   in Loop: Header=BB0_3 Depth=1
	.loc	1 66 59 is_stmt 1               ; fp8_utils_aot.py:66:59
	v_mov_b32_e32 v13, s9
	v_add_co_u32_e32 v24, vcc, s8, v32
	.loc	1 65 22                         ; fp8_utils_aot.py:65:22
	v_ashrrev_i32_e32 v7, 31, v32
	.loc	1 66 59                         ; fp8_utils_aot.py:66:59
	v_addc_co_u32_e32 v25, vcc, v13, v7, vcc
	.loc	1 67 20                         ; fp8_utils_aot.py:67:20
	global_load_ubyte v22, v[24:25], off
.LBB0_109:                              ;   in Loop: Header=BB0_3 Depth=1
	.loc	1 0 20 is_stmt 0                ; fp8_utils_aot.py:0:20
	s_or_b64 exec, exec, s[0:1]
	v_accvgpr_read_b32 v7, a63
	.loc	1 67 51                         ; fp8_utils_aot.py:67:51
	v_cmp_gt_i32_e32 vcc, s60, v7
	v_mov_b32_e32 v24, 0
	v_mov_b32_e32 v25, 0
	.loc	1 67 20                         ; fp8_utils_aot.py:67:20
	s_and_saveexec_b64 s[0:1], vcc
	s_cbranch_execz .LBB0_111
; %bb.110:                              ;   in Loop: Header=BB0_3 Depth=1
	.loc	1 0 20                          ; fp8_utils_aot.py:0:20
	v_accvgpr_read_b32 v18, a186
	.loc	1 66 59 is_stmt 1               ; fp8_utils_aot.py:66:59
	v_mov_b32_e32 v13, s9
	v_add_co_u32_e32 v26, vcc, s8, v18
	.loc	1 65 22                         ; fp8_utils_aot.py:65:22
	v_ashrrev_i32_e32 v7, 31, v18
	.loc	1 66 59                         ; fp8_utils_aot.py:66:59
	v_addc_co_u32_e32 v27, vcc, v13, v7, vcc
	.loc	1 67 20                         ; fp8_utils_aot.py:67:20
	global_load_ubyte v25, v[26:27], off
.LBB0_111:                              ;   in Loop: Header=BB0_3 Depth=1
	.loc	1 0 20 is_stmt 0                ; fp8_utils_aot.py:0:20
	s_or_b64 exec, exec, s[0:1]
	v_accvgpr_read_b32 v7, a62
	.loc	1 67 51                         ; fp8_utils_aot.py:67:51
	v_cmp_gt_i32_e32 vcc, s60, v7
	.loc	1 67 20                         ; fp8_utils_aot.py:67:20
	s_and_saveexec_b64 s[0:1], vcc
	s_cbranch_execz .LBB0_113
; %bb.112:                              ;   in Loop: Header=BB0_3 Depth=1
	.loc	1 0 20                          ; fp8_utils_aot.py:0:20
	v_accvgpr_read_b32 v18, a184
	.loc	1 66 59 is_stmt 1               ; fp8_utils_aot.py:66:59
	v_mov_b32_e32 v13, s9
	v_add_co_u32_e32 v26, vcc, s8, v18
	.loc	1 65 22                         ; fp8_utils_aot.py:65:22
	v_ashrrev_i32_e32 v7, 31, v18
	.loc	1 66 59                         ; fp8_utils_aot.py:66:59
	v_addc_co_u32_e32 v27, vcc, v13, v7, vcc
	.loc	1 67 20                         ; fp8_utils_aot.py:67:20
	global_load_ubyte v24, v[26:27], off
.LBB0_113:                              ;   in Loop: Header=BB0_3 Depth=1
	.loc	1 0 20 is_stmt 0                ; fp8_utils_aot.py:0:20
	s_or_b64 exec, exec, s[0:1]
	v_accvgpr_read_b32 v7, a61
	.loc	1 67 51                         ; fp8_utils_aot.py:67:51
	v_cmp_gt_i32_e32 vcc, s60, v7
	v_mov_b32_e32 v26, 0
	v_mov_b32_e32 v27, 0
	.loc	1 67 20                         ; fp8_utils_aot.py:67:20
	s_and_saveexec_b64 s[0:1], vcc
	s_cbranch_execz .LBB0_115
; %bb.114:                              ;   in Loop: Header=BB0_3 Depth=1
	.loc	1 0 20                          ; fp8_utils_aot.py:0:20
	v_accvgpr_read_b32 v18, a182
	.loc	1 66 59 is_stmt 1               ; fp8_utils_aot.py:66:59
	v_mov_b32_e32 v13, s9
	v_add_co_u32_e32 v28, vcc, s8, v18
	.loc	1 65 22                         ; fp8_utils_aot.py:65:22
	v_ashrrev_i32_e32 v7, 31, v18
	.loc	1 66 59                         ; fp8_utils_aot.py:66:59
	v_addc_co_u32_e32 v29, vcc, v13, v7, vcc
	.loc	1 67 20                         ; fp8_utils_aot.py:67:20
	global_load_ubyte v27, v[28:29], off
.LBB0_115:                              ;   in Loop: Header=BB0_3 Depth=1
	.loc	1 0 20 is_stmt 0                ; fp8_utils_aot.py:0:20
	s_or_b64 exec, exec, s[0:1]
	v_accvgpr_read_b32 v7, a60
	.loc	1 67 51                         ; fp8_utils_aot.py:67:51
	v_cmp_gt_i32_e32 vcc, s60, v7
	.loc	1 67 20                         ; fp8_utils_aot.py:67:20
	s_and_saveexec_b64 s[0:1], vcc
	s_cbranch_execz .LBB0_117
; %bb.116:                              ;   in Loop: Header=BB0_3 Depth=1
	.loc	1 0 20                          ; fp8_utils_aot.py:0:20
	v_accvgpr_read_b32 v18, a180
	.loc	1 66 59 is_stmt 1               ; fp8_utils_aot.py:66:59
	v_mov_b32_e32 v13, s9
	v_add_co_u32_e32 v28, vcc, s8, v18
	.loc	1 65 22                         ; fp8_utils_aot.py:65:22
	v_ashrrev_i32_e32 v7, 31, v18
	.loc	1 66 59                         ; fp8_utils_aot.py:66:59
	v_addc_co_u32_e32 v29, vcc, v13, v7, vcc
	.loc	1 67 20                         ; fp8_utils_aot.py:67:20
	global_load_ubyte v26, v[28:29], off
.LBB0_117:                              ;   in Loop: Header=BB0_3 Depth=1
	;; [unrolled: 44-line block ×4, first 2 shown]
	.loc	1 0 20 is_stmt 0                ; fp8_utils_aot.py:0:20
	s_or_b64 exec, exec, s[0:1]
	v_accvgpr_read_b32 v7, a55
	.loc	1 67 51                         ; fp8_utils_aot.py:67:51
	v_cmp_gt_i32_e32 vcc, s60, v7
	v_mov_b32_e32 v92, 0
	v_mov_b32_e32 v93, 0
	.loc	1 67 20                         ; fp8_utils_aot.py:67:20
	s_and_saveexec_b64 s[0:1], vcc
	s_cbranch_execz .LBB0_127
; %bb.126:                              ;   in Loop: Header=BB0_3 Depth=1
	.loc	1 0 20                          ; fp8_utils_aot.py:0:20
	v_accvgpr_read_b32 v18, a170
	.loc	1 66 59 is_stmt 1               ; fp8_utils_aot.py:66:59
	v_mov_b32_e32 v13, s9
	v_add_co_u32_e32 v94, vcc, s8, v18
	.loc	1 65 22                         ; fp8_utils_aot.py:65:22
	v_ashrrev_i32_e32 v7, 31, v18
	.loc	1 66 59                         ; fp8_utils_aot.py:66:59
	v_addc_co_u32_e32 v95, vcc, v13, v7, vcc
	.loc	1 67 20                         ; fp8_utils_aot.py:67:20
	global_load_ubyte v93, v[94:95], off
.LBB0_127:                              ;   in Loop: Header=BB0_3 Depth=1
	.loc	1 0 20 is_stmt 0                ; fp8_utils_aot.py:0:20
	s_or_b64 exec, exec, s[0:1]
	v_accvgpr_read_b32 v7, a54
	.loc	1 67 51                         ; fp8_utils_aot.py:67:51
	v_cmp_gt_i32_e32 vcc, s60, v7
	.loc	1 67 20                         ; fp8_utils_aot.py:67:20
	s_and_saveexec_b64 s[0:1], vcc
	s_cbranch_execz .LBB0_129
; %bb.128:                              ;   in Loop: Header=BB0_3 Depth=1
	.loc	1 66 59 is_stmt 1               ; fp8_utils_aot.py:66:59
	v_mov_b32_e32 v13, s9
	v_add_co_u32_e32 v94, vcc, s8, v230
	.loc	1 65 22                         ; fp8_utils_aot.py:65:22
	v_ashrrev_i32_e32 v7, 31, v230
	.loc	1 66 59                         ; fp8_utils_aot.py:66:59
	v_addc_co_u32_e32 v95, vcc, v13, v7, vcc
	.loc	1 67 20                         ; fp8_utils_aot.py:67:20
	global_load_ubyte v92, v[94:95], off
.LBB0_129:                              ;   in Loop: Header=BB0_3 Depth=1
	.loc	1 0 20 is_stmt 0                ; fp8_utils_aot.py:0:20
	s_or_b64 exec, exec, s[0:1]
	v_accvgpr_read_b32 v7, a53
	.loc	1 67 51                         ; fp8_utils_aot.py:67:51
	v_cmp_gt_i32_e32 vcc, s60, v7
	v_mov_b32_e32 v94, 0
	v_mov_b32_e32 v95, 0
	.loc	1 67 20                         ; fp8_utils_aot.py:67:20
	s_and_saveexec_b64 s[0:1], vcc
	s_cbranch_execz .LBB0_131
; %bb.130:                              ;   in Loop: Header=BB0_3 Depth=1
	.loc	1 66 59 is_stmt 1               ; fp8_utils_aot.py:66:59
	v_mov_b32_e32 v13, s9
	v_add_co_u32_e32 v96, vcc, s8, v228
	.loc	1 65 22                         ; fp8_utils_aot.py:65:22
	v_ashrrev_i32_e32 v7, 31, v228
	.loc	1 66 59                         ; fp8_utils_aot.py:66:59
	v_addc_co_u32_e32 v97, vcc, v13, v7, vcc
	.loc	1 67 20                         ; fp8_utils_aot.py:67:20
	global_load_ubyte v95, v[96:97], off
.LBB0_131:                              ;   in Loop: Header=BB0_3 Depth=1
	.loc	1 0 20 is_stmt 0                ; fp8_utils_aot.py:0:20
	s_or_b64 exec, exec, s[0:1]
	v_accvgpr_read_b32 v7, a85
	.loc	1 67 51                         ; fp8_utils_aot.py:67:51
	v_cmp_gt_i32_e32 vcc, s60, v7
	.loc	1 67 20                         ; fp8_utils_aot.py:67:20
	s_and_saveexec_b64 s[0:1], vcc
	s_cbranch_execz .LBB0_133
; %bb.132:                              ;   in Loop: Header=BB0_3 Depth=1
	.loc	1 66 59 is_stmt 1               ; fp8_utils_aot.py:66:59
	v_mov_b32_e32 v13, s9
	v_add_co_u32_e32 v96, vcc, s8, v226
	.loc	1 65 22                         ; fp8_utils_aot.py:65:22
	v_ashrrev_i32_e32 v7, 31, v226
	.loc	1 66 59                         ; fp8_utils_aot.py:66:59
	v_addc_co_u32_e32 v97, vcc, v13, v7, vcc
	.loc	1 67 20                         ; fp8_utils_aot.py:67:20
	global_load_ubyte v94, v[96:97], off
.LBB0_133:                              ;   in Loop: Header=BB0_3 Depth=1
	.loc	1 0 20 is_stmt 0                ; fp8_utils_aot.py:0:20
	s_or_b64 exec, exec, s[0:1]
	v_accvgpr_read_b32 v7, a87
	.loc	1 67 51                         ; fp8_utils_aot.py:67:51
	v_cmp_gt_i32_e32 vcc, s60, v7
	v_mov_b32_e32 v96, 0
	v_mov_b32_e32 v97, 0
	.loc	1 67 20                         ; fp8_utils_aot.py:67:20
	s_and_saveexec_b64 s[0:1], vcc
	s_cbranch_execz .LBB0_135
; %bb.134:                              ;   in Loop: Header=BB0_3 Depth=1
	.loc	1 66 59 is_stmt 1               ; fp8_utils_aot.py:66:59
	v_mov_b32_e32 v13, s9
	v_add_co_u32_e32 v98, vcc, s8, v224
	.loc	1 65 22                         ; fp8_utils_aot.py:65:22
	v_ashrrev_i32_e32 v7, 31, v224
	.loc	1 66 59                         ; fp8_utils_aot.py:66:59
	v_addc_co_u32_e32 v99, vcc, v13, v7, vcc
	.loc	1 67 20                         ; fp8_utils_aot.py:67:20
	global_load_ubyte v97, v[98:99], off
.LBB0_135:                              ;   in Loop: Header=BB0_3 Depth=1
	;; [unrolled: 40-line block ×12, first 2 shown]
	.loc	1 0 20 is_stmt 0                ; fp8_utils_aot.py:0:20
	s_or_b64 exec, exec, s[0:1]
	v_accvgpr_read_b32 v7, a129
	.loc	1 67 51                         ; fp8_utils_aot.py:67:51
	v_cmp_gt_i32_e32 vcc, s60, v7
	.loc	1 67 20                         ; fp8_utils_aot.py:67:20
	s_and_saveexec_b64 s[0:1], vcc
	s_cbranch_execz .LBB0_177
; %bb.176:                              ;   in Loop: Header=BB0_3 Depth=1
	.loc	1 0 20                          ; fp8_utils_aot.py:0:20
	v_accvgpr_read_b32 v18, a168
	.loc	1 66 59 is_stmt 1               ; fp8_utils_aot.py:66:59
	v_mov_b32_e32 v13, s9
	v_add_co_u32_e32 v144, vcc, s8, v18
	.loc	1 65 22                         ; fp8_utils_aot.py:65:22
	v_ashrrev_i32_e32 v7, 31, v18
	.loc	1 66 59                         ; fp8_utils_aot.py:66:59
	v_addc_co_u32_e32 v145, vcc, v13, v7, vcc
	.loc	1 67 20                         ; fp8_utils_aot.py:67:20
	global_load_ubyte v155, v[144:145], off
.LBB0_177:                              ;   in Loop: Header=BB0_3 Depth=1
	.loc	1 0 20 is_stmt 0                ; fp8_utils_aot.py:0:20
	s_or_b64 exec, exec, s[0:1]
	v_accvgpr_read_b32 v7, a131
	.loc	1 67 51                         ; fp8_utils_aot.py:67:51
	v_cmp_gt_i32_e32 vcc, s60, v7
	v_mov_b32_e32 v164, 0
	v_mov_b32_e32 v166, 0
	.loc	1 67 20                         ; fp8_utils_aot.py:67:20
	s_and_saveexec_b64 s[0:1], vcc
	s_cbranch_execz .LBB0_179
; %bb.178:                              ;   in Loop: Header=BB0_3 Depth=1
	.loc	1 0 20                          ; fp8_utils_aot.py:0:20
	v_accvgpr_read_b32 v18, a166
	.loc	1 66 59 is_stmt 1               ; fp8_utils_aot.py:66:59
	v_mov_b32_e32 v13, s9
	v_add_co_u32_e32 v144, vcc, s8, v18
	.loc	1 65 22                         ; fp8_utils_aot.py:65:22
	v_ashrrev_i32_e32 v7, 31, v18
	.loc	1 66 59                         ; fp8_utils_aot.py:66:59
	v_addc_co_u32_e32 v145, vcc, v13, v7, vcc
	.loc	1 67 20                         ; fp8_utils_aot.py:67:20
	global_load_ubyte v166, v[144:145], off
.LBB0_179:                              ;   in Loop: Header=BB0_3 Depth=1
	.loc	1 0 20 is_stmt 0                ; fp8_utils_aot.py:0:20
	s_or_b64 exec, exec, s[0:1]
	v_accvgpr_read_b32 v7, a133
	.loc	1 67 51                         ; fp8_utils_aot.py:67:51
	v_cmp_gt_i32_e32 vcc, s60, v7
	.loc	1 67 20                         ; fp8_utils_aot.py:67:20
	s_and_saveexec_b64 s[0:1], vcc
	s_cbranch_execz .LBB0_181
; %bb.180:                              ;   in Loop: Header=BB0_3 Depth=1
	.loc	1 0 20                          ; fp8_utils_aot.py:0:20
	v_accvgpr_read_b32 v18, a164
	.loc	1 66 59 is_stmt 1               ; fp8_utils_aot.py:66:59
	v_mov_b32_e32 v13, s9
	v_add_co_u32_e32 v144, vcc, s8, v18
	.loc	1 65 22                         ; fp8_utils_aot.py:65:22
	v_ashrrev_i32_e32 v7, 31, v18
	.loc	1 66 59                         ; fp8_utils_aot.py:66:59
	v_addc_co_u32_e32 v145, vcc, v13, v7, vcc
	.loc	1 67 20                         ; fp8_utils_aot.py:67:20
	global_load_ubyte v164, v[144:145], off
.LBB0_181:                              ;   in Loop: Header=BB0_3 Depth=1
	.loc	1 0 20 is_stmt 0                ; fp8_utils_aot.py:0:20
	s_or_b64 exec, exec, s[0:1]
	v_accvgpr_read_b32 v7, a135
	.loc	1 67 51                         ; fp8_utils_aot.py:67:51
	v_cmp_gt_i32_e32 vcc, s60, v7
	v_mov_b32_e32 v168, 0
	v_mov_b32_e32 v170, 0
	.loc	1 67 20                         ; fp8_utils_aot.py:67:20
	s_and_saveexec_b64 s[0:1], vcc
	s_cbranch_execz .LBB0_183
; %bb.182:                              ;   in Loop: Header=BB0_3 Depth=1
	.loc	1 0 20                          ; fp8_utils_aot.py:0:20
	v_accvgpr_read_b32 v18, a162
	.loc	1 66 59 is_stmt 1               ; fp8_utils_aot.py:66:59
	v_mov_b32_e32 v13, s9
	v_add_co_u32_e32 v144, vcc, s8, v18
	.loc	1 65 22                         ; fp8_utils_aot.py:65:22
	v_ashrrev_i32_e32 v7, 31, v18
	.loc	1 66 59                         ; fp8_utils_aot.py:66:59
	v_addc_co_u32_e32 v145, vcc, v13, v7, vcc
	.loc	1 67 20                         ; fp8_utils_aot.py:67:20
	global_load_ubyte v170, v[144:145], off
.LBB0_183:                              ;   in Loop: Header=BB0_3 Depth=1
	;; [unrolled: 44-line block ×4, first 2 shown]
	.loc	1 0 20 is_stmt 0                ; fp8_utils_aot.py:0:20
	s_or_b64 exec, exec, s[0:1]
	v_accvgpr_read_b32 v7, a145
	.loc	1 67 51                         ; fp8_utils_aot.py:67:51
	v_cmp_gt_i32_e32 vcc, s60, v7
	.loc	1 67 20                         ; fp8_utils_aot.py:67:20
	s_and_saveexec_b64 s[0:1], vcc
	s_cbranch_execz .LBB0_193
; %bb.192:                              ;   in Loop: Header=BB0_3 Depth=1
	.loc	1 0 20                          ; fp8_utils_aot.py:0:20
	v_accvgpr_read_b32 v18, a152
	.loc	1 66 59 is_stmt 1               ; fp8_utils_aot.py:66:59
	v_mov_b32_e32 v13, s9
	v_add_co_u32_e32 v144, vcc, s8, v18
	.loc	1 65 22                         ; fp8_utils_aot.py:65:22
	v_ashrrev_i32_e32 v7, 31, v18
	.loc	1 66 59                         ; fp8_utils_aot.py:66:59
	v_addc_co_u32_e32 v145, vcc, v13, v7, vcc
	.loc	1 67 20                         ; fp8_utils_aot.py:67:20
	global_load_ubyte v178, v[144:145], off
.LBB0_193:                              ;   in Loop: Header=BB0_3 Depth=1
	.loc	1 0 20 is_stmt 0                ; fp8_utils_aot.py:0:20
	v_writelane_b32 v253, s58, 15
	v_writelane_b32 v253, s59, 16
	s_or_b64 exec, exec, s[0:1]
	v_accvgpr_read_b32 v7, a147
	v_writelane_b32 v253, s60, 17
	.loc	1 67 51                         ; fp8_utils_aot.py:67:51
	v_cmp_gt_i32_e32 vcc, s60, v7
	v_mov_b32_e32 v229, 0
	.loc	1 67 20                         ; fp8_utils_aot.py:67:20
	s_and_saveexec_b64 s[0:1], vcc
	v_writelane_b32 v253, s4, 18
	s_cbranch_execz .LBB0_2
; %bb.194:                              ;   in Loop: Header=BB0_3 Depth=1
	.loc	1 0 20                          ; fp8_utils_aot.py:0:20
	v_accvgpr_read_b32 v18, a150
	.loc	1 66 59 is_stmt 1               ; fp8_utils_aot.py:66:59
	v_mov_b32_e32 v13, s9
	v_add_co_u32_e32 v144, vcc, s8, v18
	.loc	1 65 22                         ; fp8_utils_aot.py:65:22
	v_ashrrev_i32_e32 v7, 31, v18
	.loc	1 66 59                         ; fp8_utils_aot.py:66:59
	v_addc_co_u32_e32 v145, vcc, v13, v7, vcc
	.loc	1 67 20                         ; fp8_utils_aot.py:67:20
	global_load_ubyte v229, v[144:145], off
	s_branch .LBB0_2
.LBB0_195:                              ; %Flow
	.loc	1 0 20 is_stmt 0                ; fp8_utils_aot.py:0:20
	v_readlane_b32 s4, v253, 2
	v_readlane_b32 s5, v253, 3
	s_load_dwordx2 s[42:43], s[4:5], 0x28
	v_readlane_b32 s10, v253, 0
	v_readlane_b32 s11, v253, 1
	v_accvgpr_read_b32 v36, a8
	v_accvgpr_read_b32 v23, a16
.LBB0_196:                              ; %Flow933
	s_load_dwordx2 s[36:37], s[4:5], 0x4c
	.loc	1 87 17 is_stmt 1               ; fp8_utils_aot.py:87:17
	v_mov_b32_e32 v2, s11
	.loc	1 88 33                         ; fp8_utils_aot.py:88:33
	s_waitcnt lgkmcnt(0)
	v_cmp_gt_i32_e64 s[12:13], s42, v23
	.loc	1 88 58 is_stmt 0               ; fp8_utils_aot.py:88:58
	v_cmp_gt_i32_e64 s[0:1], s43, v252
	.loc	1 88 39                         ; fp8_utils_aot.py:88:39
	s_and_b64 s[4:5], s[12:13], s[0:1]
	.loc	1 87 29 is_stmt 1               ; fp8_utils_aot.py:87:29
	v_mul_lo_u32 v0, v23, s36
	.loc	1 87 17 is_stmt 0               ; fp8_utils_aot.py:87:17
	v_ashrrev_i32_e32 v1, 31, v0
	v_lshlrev_b64 v[0:1], 1, v[0:1]
	v_add_co_u32_e32 v32, vcc, s10, v0
	.loc	1 87 60                         ; fp8_utils_aot.py:87:60
	v_mul_lo_u32 v0, v252, s37
	.loc	1 87 17                         ; fp8_utils_aot.py:87:17
	v_addc_co_u32_e32 v33, vcc, v2, v1, vcc
	.loc	1 87 48                         ; fp8_utils_aot.py:87:48
	v_ashrrev_i32_e32 v1, 31, v0
	v_lshlrev_b64 v[0:1], 1, v[0:1]
	.loc	1 89 21 is_stmt 1               ; fp8_utils_aot.py:89:21
	s_and_saveexec_b64 s[2:3], s[4:5]
	s_cbranch_execz .LBB0_198
; %bb.197:
	.loc	1 79 27                         ; fp8_utils_aot.py:79:27
	v_bfe_u32 v2, v232, 16, 1
	s_movk_i32 s4, 0x7fff
	v_add3_u32 v2, v232, v2, s4
	v_cmp_o_f32_e32 vcc, v232, v232
	v_mov_b32_e32 v3, 0x7fff
	v_cndmask_b32_sdwa v4, v3, v2, vcc dst_sel:DWORD dst_unused:UNUSED_PAD src0_sel:DWORD src1_sel:WORD_1
	.loc	1 87 48                         ; fp8_utils_aot.py:87:48
	v_add_co_u32_e32 v2, vcc, v32, v0
	v_addc_co_u32_e32 v3, vcc, v33, v1, vcc
	.loc	1 89 21                         ; fp8_utils_aot.py:89:21
	global_store_short v[2:3], v4, off
.LBB0_198:
	.loc	1 0 21 is_stmt 0                ; fp8_utils_aot.py:0:21
	s_or_b64 exec, exec, s[2:3]
	v_accvgpr_read_b32 v4, a15
	.loc	1 87 60 is_stmt 1               ; fp8_utils_aot.py:87:60
	v_mul_lo_u32 v2, s37, v4
	.loc	1 87 48 is_stmt 0               ; fp8_utils_aot.py:87:48
	v_ashrrev_i32_e32 v3, 31, v2
	.loc	1 88 58 is_stmt 1               ; fp8_utils_aot.py:88:58
	v_cmp_gt_i32_e64 s[2:3], s43, v4
	.loc	1 88 39 is_stmt 0               ; fp8_utils_aot.py:88:39
	s_and_b64 s[6:7], s[2:3], s[12:13]
	v_lshlrev_b64 v[2:3], 1, v[2:3]
	.loc	1 89 21 is_stmt 1               ; fp8_utils_aot.py:89:21
	s_and_saveexec_b64 s[4:5], s[6:7]
	s_cbranch_execz .LBB0_200
; %bb.199:
	.loc	1 79 27                         ; fp8_utils_aot.py:79:27
	v_bfe_u32 v4, v233, 16, 1
	s_movk_i32 s6, 0x7fff
	v_add3_u32 v4, v233, v4, s6
	v_cmp_o_f32_e32 vcc, v233, v233
	v_mov_b32_e32 v5, 0x7fff
	v_cndmask_b32_sdwa v6, v5, v4, vcc dst_sel:DWORD dst_unused:UNUSED_PAD src0_sel:DWORD src1_sel:WORD_1
	.loc	1 87 48                         ; fp8_utils_aot.py:87:48
	v_add_co_u32_e32 v4, vcc, v32, v2
	v_addc_co_u32_e32 v5, vcc, v33, v3, vcc
	.loc	1 89 21                         ; fp8_utils_aot.py:89:21
	global_store_short v[4:5], v6, off
.LBB0_200:
	.loc	1 0 21 is_stmt 0                ; fp8_utils_aot.py:0:21
	s_or_b64 exec, exec, s[4:5]
	v_accvgpr_read_b32 v6, a14
	.loc	1 87 60 is_stmt 1               ; fp8_utils_aot.py:87:60
	v_mul_lo_u32 v4, s37, v6
	.loc	1 87 48 is_stmt 0               ; fp8_utils_aot.py:87:48
	v_ashrrev_i32_e32 v5, 31, v4
	.loc	1 88 58 is_stmt 1               ; fp8_utils_aot.py:88:58
	v_cmp_gt_i32_e64 s[4:5], s43, v6
	.loc	1 88 39 is_stmt 0               ; fp8_utils_aot.py:88:39
	s_and_b64 s[8:9], s[4:5], s[12:13]
	;; [unrolled: 29-line block ×15, first 2 shown]
	v_lshlrev_b64 v[30:31], 1, v[30:31]
	.loc	1 89 21 is_stmt 1               ; fp8_utils_aot.py:89:21
	s_and_saveexec_b64 s[12:13], s[38:39]
	s_cbranch_execz .LBB0_228
; %bb.227:
	.loc	1 79 27                         ; fp8_utils_aot.py:79:27
	v_bfe_u32 v34, v85, 16, 1
	s_movk_i32 s33, 0x7fff
	v_add3_u32 v34, v85, v34, s33
	v_cmp_o_f32_e32 vcc, v85, v85
	v_mov_b32_e32 v35, 0x7fff
	v_cndmask_b32_sdwa v34, v35, v34, vcc dst_sel:DWORD dst_unused:UNUSED_PAD src0_sel:DWORD src1_sel:WORD_1
	.loc	1 87 48                         ; fp8_utils_aot.py:87:48
	v_add_co_u32_e32 v32, vcc, v32, v30
	v_addc_co_u32_e32 v33, vcc, v33, v31, vcc
	.loc	1 89 21                         ; fp8_utils_aot.py:89:21
	global_store_short v[32:33], v34, off
.LBB0_228:
	.loc	1 0 21 is_stmt 0                ; fp8_utils_aot.py:0:21
	s_or_b64 exec, exec, s[12:13]
	.loc	1 87 29 is_stmt 1               ; fp8_utils_aot.py:87:29
	v_mul_lo_u32 v32, s36, v36
	.loc	1 87 17 is_stmt 0               ; fp8_utils_aot.py:87:17
	v_ashrrev_i32_e32 v33, 31, v32
	v_lshlrev_b64 v[32:33], 1, v[32:33]
	v_mov_b32_e32 v34, s11
	v_add_co_u32_e32 v32, vcc, s10, v32
	.loc	1 88 33 is_stmt 1               ; fp8_utils_aot.py:88:33
	v_cmp_gt_i32_e64 s[12:13], s42, v36
	.loc	1 87 17                         ; fp8_utils_aot.py:87:17
	v_addc_co_u32_e32 v33, vcc, v34, v33, vcc
	.loc	1 88 39                         ; fp8_utils_aot.py:88:39
	s_and_b64 s[36:37], s[12:13], s[0:1]
	.loc	1 89 21                         ; fp8_utils_aot.py:89:21
	s_and_saveexec_b64 s[0:1], s[36:37]
	s_cbranch_execnz .LBB0_245
; %bb.229:
	.loc	1 0 21 is_stmt 0                ; fp8_utils_aot.py:0:21
	s_or_b64 exec, exec, s[0:1]
	.loc	1 88 39 is_stmt 1               ; fp8_utils_aot.py:88:39
	s_and_b64 s[2:3], s[12:13], s[2:3]
	.loc	1 89 21                         ; fp8_utils_aot.py:89:21
	s_and_saveexec_b64 s[0:1], s[2:3]
	s_cbranch_execnz .LBB0_246
.LBB0_230:
	.loc	1 0 21 is_stmt 0                ; fp8_utils_aot.py:0:21
	s_or_b64 exec, exec, s[0:1]
	.loc	1 88 39 is_stmt 1               ; fp8_utils_aot.py:88:39
	s_and_b64 s[2:3], s[12:13], s[4:5]
	.loc	1 89 21                         ; fp8_utils_aot.py:89:21
	s_and_saveexec_b64 s[0:1], s[2:3]
	s_cbranch_execnz .LBB0_247
.LBB0_231:
	.loc	1 0 21 is_stmt 0                ; fp8_utils_aot.py:0:21
	s_or_b64 exec, exec, s[0:1]
	.loc	1 88 39 is_stmt 1               ; fp8_utils_aot.py:88:39
	s_and_b64 s[2:3], s[12:13], s[6:7]
	.loc	1 89 21                         ; fp8_utils_aot.py:89:21
	s_and_saveexec_b64 s[0:1], s[2:3]
	s_cbranch_execnz .LBB0_248
.LBB0_232:
	.loc	1 0 21 is_stmt 0                ; fp8_utils_aot.py:0:21
	s_or_b64 exec, exec, s[0:1]
	.loc	1 88 39 is_stmt 1               ; fp8_utils_aot.py:88:39
	s_and_b64 s[2:3], s[12:13], s[8:9]
	.loc	1 89 21                         ; fp8_utils_aot.py:89:21
	s_and_saveexec_b64 s[0:1], s[2:3]
	s_cbranch_execnz .LBB0_249
.LBB0_233:
	.loc	1 0 21 is_stmt 0                ; fp8_utils_aot.py:0:21
	s_or_b64 exec, exec, s[0:1]
	.loc	1 88 39 is_stmt 1               ; fp8_utils_aot.py:88:39
	s_and_b64 s[2:3], s[12:13], s[40:41]
	.loc	1 89 21                         ; fp8_utils_aot.py:89:21
	s_and_saveexec_b64 s[0:1], s[2:3]
	s_cbranch_execnz .LBB0_250
.LBB0_234:
	.loc	1 0 21 is_stmt 0                ; fp8_utils_aot.py:0:21
	s_or_b64 exec, exec, s[0:1]
	.loc	1 88 39 is_stmt 1               ; fp8_utils_aot.py:88:39
	s_and_b64 s[2:3], s[12:13], s[14:15]
	.loc	1 89 21                         ; fp8_utils_aot.py:89:21
	s_and_saveexec_b64 s[0:1], s[2:3]
	s_cbranch_execnz .LBB0_251
.LBB0_235:
	.loc	1 0 21 is_stmt 0                ; fp8_utils_aot.py:0:21
	s_or_b64 exec, exec, s[0:1]
	.loc	1 88 39 is_stmt 1               ; fp8_utils_aot.py:88:39
	s_and_b64 s[2:3], s[12:13], s[16:17]
	.loc	1 89 21                         ; fp8_utils_aot.py:89:21
	s_and_saveexec_b64 s[0:1], s[2:3]
	s_cbranch_execnz .LBB0_252
.LBB0_236:
	.loc	1 0 21 is_stmt 0                ; fp8_utils_aot.py:0:21
	s_or_b64 exec, exec, s[0:1]
	.loc	1 88 39 is_stmt 1               ; fp8_utils_aot.py:88:39
	s_and_b64 s[2:3], s[12:13], s[18:19]
	.loc	1 89 21                         ; fp8_utils_aot.py:89:21
	s_and_saveexec_b64 s[0:1], s[2:3]
	s_cbranch_execnz .LBB0_253
.LBB0_237:
	.loc	1 0 21 is_stmt 0                ; fp8_utils_aot.py:0:21
	s_or_b64 exec, exec, s[0:1]
	.loc	1 88 39 is_stmt 1               ; fp8_utils_aot.py:88:39
	s_and_b64 s[2:3], s[12:13], s[20:21]
	.loc	1 89 21                         ; fp8_utils_aot.py:89:21
	s_and_saveexec_b64 s[0:1], s[2:3]
	s_cbranch_execnz .LBB0_254
.LBB0_238:
	.loc	1 0 21 is_stmt 0                ; fp8_utils_aot.py:0:21
	s_or_b64 exec, exec, s[0:1]
	.loc	1 88 39 is_stmt 1               ; fp8_utils_aot.py:88:39
	s_and_b64 s[2:3], s[12:13], s[22:23]
	.loc	1 89 21                         ; fp8_utils_aot.py:89:21
	s_and_saveexec_b64 s[0:1], s[2:3]
	s_cbranch_execnz .LBB0_255
.LBB0_239:
	.loc	1 0 21 is_stmt 0                ; fp8_utils_aot.py:0:21
	s_or_b64 exec, exec, s[0:1]
	.loc	1 88 39 is_stmt 1               ; fp8_utils_aot.py:88:39
	s_and_b64 s[2:3], s[12:13], s[24:25]
	.loc	1 89 21                         ; fp8_utils_aot.py:89:21
	s_and_saveexec_b64 s[0:1], s[2:3]
	s_cbranch_execnz .LBB0_256
.LBB0_240:
	.loc	1 0 21 is_stmt 0                ; fp8_utils_aot.py:0:21
	s_or_b64 exec, exec, s[0:1]
	.loc	1 88 39 is_stmt 1               ; fp8_utils_aot.py:88:39
	s_and_b64 s[2:3], s[12:13], s[26:27]
	.loc	1 89 21                         ; fp8_utils_aot.py:89:21
	s_and_saveexec_b64 s[0:1], s[2:3]
	s_cbranch_execnz .LBB0_257
.LBB0_241:
	.loc	1 0 21 is_stmt 0                ; fp8_utils_aot.py:0:21
	s_or_b64 exec, exec, s[0:1]
	.loc	1 88 39 is_stmt 1               ; fp8_utils_aot.py:88:39
	s_and_b64 s[2:3], s[12:13], s[28:29]
	.loc	1 89 21                         ; fp8_utils_aot.py:89:21
	s_and_saveexec_b64 s[0:1], s[2:3]
	s_cbranch_execnz .LBB0_258
.LBB0_242:
	.loc	1 0 21 is_stmt 0                ; fp8_utils_aot.py:0:21
	s_or_b64 exec, exec, s[0:1]
	.loc	1 88 39 is_stmt 1               ; fp8_utils_aot.py:88:39
	s_and_b64 s[2:3], s[12:13], s[30:31]
	.loc	1 89 21                         ; fp8_utils_aot.py:89:21
	s_and_saveexec_b64 s[0:1], s[2:3]
	s_cbranch_execnz .LBB0_259
.LBB0_243:
	.loc	1 0 21 is_stmt 0                ; fp8_utils_aot.py:0:21
	s_or_b64 exec, exec, s[0:1]
	.loc	1 88 39 is_stmt 1               ; fp8_utils_aot.py:88:39
	s_and_b64 s[0:1], s[12:13], s[34:35]
	.loc	1 89 21                         ; fp8_utils_aot.py:89:21
	s_and_saveexec_b64 s[2:3], s[0:1]
	s_cbranch_execnz .LBB0_260
.LBB0_244:
	.loc	1 89 4 is_stmt 0                ; fp8_utils_aot.py:89:4
	s_endpgm
.LBB0_245:
	.loc	1 79 27 is_stmt 1               ; fp8_utils_aot.py:79:27
	v_bfe_u32 v34, v82, 16, 1
	s_movk_i32 s33, 0x7fff
	v_add3_u32 v34, v82, v34, s33
	v_cmp_o_f32_e32 vcc, v82, v82
	v_mov_b32_e32 v35, 0x7fff
	v_cndmask_b32_sdwa v34, v35, v34, vcc dst_sel:DWORD dst_unused:UNUSED_PAD src0_sel:DWORD src1_sel:WORD_1
	.loc	1 87 48                         ; fp8_utils_aot.py:87:48
	v_add_co_u32_e32 v0, vcc, v32, v0
	v_addc_co_u32_e32 v1, vcc, v33, v1, vcc
	.loc	1 89 21                         ; fp8_utils_aot.py:89:21
	global_store_short v[0:1], v34, off
	s_or_b64 exec, exec, s[0:1]
	.loc	1 88 39                         ; fp8_utils_aot.py:88:39
	s_and_b64 s[2:3], s[12:13], s[2:3]
	.loc	1 89 21                         ; fp8_utils_aot.py:89:21
	s_and_saveexec_b64 s[0:1], s[2:3]
	s_cbranch_execz .LBB0_230
.LBB0_246:
	.loc	1 79 27                         ; fp8_utils_aot.py:79:27
	v_bfe_u32 v0, v83, 16, 1
	s_movk_i32 s2, 0x7fff
	v_add3_u32 v0, v83, v0, s2
	v_cmp_o_f32_e32 vcc, v83, v83
	v_mov_b32_e32 v1, 0x7fff
	v_cndmask_b32_sdwa v34, v1, v0, vcc dst_sel:DWORD dst_unused:UNUSED_PAD src0_sel:DWORD src1_sel:WORD_1
	.loc	1 87 48                         ; fp8_utils_aot.py:87:48
	v_add_co_u32_e32 v0, vcc, v32, v2
	v_addc_co_u32_e32 v1, vcc, v33, v3, vcc
	.loc	1 89 21                         ; fp8_utils_aot.py:89:21
	global_store_short v[0:1], v34, off
	s_or_b64 exec, exec, s[0:1]
	.loc	1 88 39                         ; fp8_utils_aot.py:88:39
	s_and_b64 s[2:3], s[12:13], s[4:5]
	.loc	1 89 21                         ; fp8_utils_aot.py:89:21
	s_and_saveexec_b64 s[0:1], s[2:3]
	s_cbranch_execz .LBB0_231
.LBB0_247:
	.loc	1 79 27                         ; fp8_utils_aot.py:79:27
	v_bfe_u32 v0, v80, 16, 1
	s_movk_i32 s2, 0x7fff
	v_add3_u32 v0, v80, v0, s2
	v_cmp_o_f32_e32 vcc, v80, v80
	v_mov_b32_e32 v1, 0x7fff
	v_cndmask_b32_sdwa v2, v1, v0, vcc dst_sel:DWORD dst_unused:UNUSED_PAD src0_sel:DWORD src1_sel:WORD_1
	.loc	1 87 48                         ; fp8_utils_aot.py:87:48
	v_add_co_u32_e32 v0, vcc, v32, v4
	v_addc_co_u32_e32 v1, vcc, v33, v5, vcc
	.loc	1 89 21                         ; fp8_utils_aot.py:89:21
	global_store_short v[0:1], v2, off
	s_or_b64 exec, exec, s[0:1]
	.loc	1 88 39                         ; fp8_utils_aot.py:88:39
	s_and_b64 s[2:3], s[12:13], s[6:7]
	.loc	1 89 21                         ; fp8_utils_aot.py:89:21
	s_and_saveexec_b64 s[0:1], s[2:3]
	s_cbranch_execz .LBB0_232
.LBB0_248:
	.loc	1 79 27                         ; fp8_utils_aot.py:79:27
	v_bfe_u32 v0, v81, 16, 1
	s_movk_i32 s2, 0x7fff
	v_add3_u32 v0, v81, v0, s2
	v_cmp_o_f32_e32 vcc, v81, v81
	v_mov_b32_e32 v1, 0x7fff
	v_cndmask_b32_sdwa v2, v1, v0, vcc dst_sel:DWORD dst_unused:UNUSED_PAD src0_sel:DWORD src1_sel:WORD_1
	.loc	1 87 48                         ; fp8_utils_aot.py:87:48
	v_add_co_u32_e32 v0, vcc, v32, v6
	v_addc_co_u32_e32 v1, vcc, v33, v7, vcc
	.loc	1 89 21                         ; fp8_utils_aot.py:89:21
	global_store_short v[0:1], v2, off
	s_or_b64 exec, exec, s[0:1]
	.loc	1 88 39                         ; fp8_utils_aot.py:88:39
	s_and_b64 s[2:3], s[12:13], s[8:9]
	.loc	1 89 21                         ; fp8_utils_aot.py:89:21
	s_and_saveexec_b64 s[0:1], s[2:3]
	s_cbranch_execz .LBB0_233
.LBB0_249:
	.loc	1 79 27                         ; fp8_utils_aot.py:79:27
	v_bfe_u32 v0, v78, 16, 1
	s_movk_i32 s2, 0x7fff
	v_add3_u32 v0, v78, v0, s2
	v_cmp_o_f32_e32 vcc, v78, v78
	v_mov_b32_e32 v1, 0x7fff
	v_cndmask_b32_sdwa v2, v1, v0, vcc dst_sel:DWORD dst_unused:UNUSED_PAD src0_sel:DWORD src1_sel:WORD_1
	.loc	1 87 48                         ; fp8_utils_aot.py:87:48
	v_add_co_u32_e32 v0, vcc, v32, v8
	v_addc_co_u32_e32 v1, vcc, v33, v9, vcc
	.loc	1 89 21                         ; fp8_utils_aot.py:89:21
	global_store_short v[0:1], v2, off
	s_or_b64 exec, exec, s[0:1]
	.loc	1 88 39                         ; fp8_utils_aot.py:88:39
	s_and_b64 s[2:3], s[12:13], s[40:41]
	.loc	1 89 21                         ; fp8_utils_aot.py:89:21
	s_and_saveexec_b64 s[0:1], s[2:3]
	s_cbranch_execz .LBB0_234
.LBB0_250:
	.loc	1 79 27                         ; fp8_utils_aot.py:79:27
	v_bfe_u32 v0, v79, 16, 1
	s_movk_i32 s2, 0x7fff
	v_add3_u32 v0, v79, v0, s2
	v_cmp_o_f32_e32 vcc, v79, v79
	v_mov_b32_e32 v1, 0x7fff
	v_cndmask_b32_sdwa v2, v1, v0, vcc dst_sel:DWORD dst_unused:UNUSED_PAD src0_sel:DWORD src1_sel:WORD_1
	.loc	1 87 48                         ; fp8_utils_aot.py:87:48
	v_add_co_u32_e32 v0, vcc, v32, v10
	v_addc_co_u32_e32 v1, vcc, v33, v11, vcc
	.loc	1 89 21                         ; fp8_utils_aot.py:89:21
	global_store_short v[0:1], v2, off
	s_or_b64 exec, exec, s[0:1]
	.loc	1 88 39                         ; fp8_utils_aot.py:88:39
	s_and_b64 s[2:3], s[12:13], s[14:15]
	.loc	1 89 21                         ; fp8_utils_aot.py:89:21
	s_and_saveexec_b64 s[0:1], s[2:3]
	s_cbranch_execz .LBB0_235
.LBB0_251:
	.loc	1 79 27                         ; fp8_utils_aot.py:79:27
	v_bfe_u32 v0, v76, 16, 1
	s_movk_i32 s2, 0x7fff
	v_add3_u32 v0, v76, v0, s2
	v_cmp_o_f32_e32 vcc, v76, v76
	v_mov_b32_e32 v1, 0x7fff
	v_cndmask_b32_sdwa v2, v1, v0, vcc dst_sel:DWORD dst_unused:UNUSED_PAD src0_sel:DWORD src1_sel:WORD_1
	.loc	1 87 48                         ; fp8_utils_aot.py:87:48
	v_add_co_u32_e32 v0, vcc, v32, v12
	v_addc_co_u32_e32 v1, vcc, v33, v13, vcc
	.loc	1 89 21                         ; fp8_utils_aot.py:89:21
	global_store_short v[0:1], v2, off
	s_or_b64 exec, exec, s[0:1]
	.loc	1 88 39                         ; fp8_utils_aot.py:88:39
	s_and_b64 s[2:3], s[12:13], s[16:17]
	.loc	1 89 21                         ; fp8_utils_aot.py:89:21
	s_and_saveexec_b64 s[0:1], s[2:3]
	s_cbranch_execz .LBB0_236
.LBB0_252:
	.loc	1 79 27                         ; fp8_utils_aot.py:79:27
	v_bfe_u32 v0, v77, 16, 1
	s_movk_i32 s2, 0x7fff
	v_add3_u32 v0, v77, v0, s2
	v_cmp_o_f32_e32 vcc, v77, v77
	v_mov_b32_e32 v1, 0x7fff
	v_cndmask_b32_sdwa v2, v1, v0, vcc dst_sel:DWORD dst_unused:UNUSED_PAD src0_sel:DWORD src1_sel:WORD_1
	.loc	1 87 48                         ; fp8_utils_aot.py:87:48
	v_add_co_u32_e32 v0, vcc, v32, v14
	v_addc_co_u32_e32 v1, vcc, v33, v15, vcc
	.loc	1 89 21                         ; fp8_utils_aot.py:89:21
	global_store_short v[0:1], v2, off
	s_or_b64 exec, exec, s[0:1]
	.loc	1 88 39                         ; fp8_utils_aot.py:88:39
	s_and_b64 s[2:3], s[12:13], s[18:19]
	.loc	1 89 21                         ; fp8_utils_aot.py:89:21
	s_and_saveexec_b64 s[0:1], s[2:3]
	s_cbranch_execz .LBB0_237
.LBB0_253:
	.loc	1 79 27                         ; fp8_utils_aot.py:79:27
	v_bfe_u32 v0, v74, 16, 1
	s_movk_i32 s2, 0x7fff
	v_add3_u32 v0, v74, v0, s2
	v_cmp_o_f32_e32 vcc, v74, v74
	v_mov_b32_e32 v1, 0x7fff
	v_cndmask_b32_sdwa v2, v1, v0, vcc dst_sel:DWORD dst_unused:UNUSED_PAD src0_sel:DWORD src1_sel:WORD_1
	.loc	1 87 48                         ; fp8_utils_aot.py:87:48
	v_add_co_u32_e32 v0, vcc, v32, v16
	v_addc_co_u32_e32 v1, vcc, v33, v17, vcc
	.loc	1 89 21                         ; fp8_utils_aot.py:89:21
	global_store_short v[0:1], v2, off
	s_or_b64 exec, exec, s[0:1]
	.loc	1 88 39                         ; fp8_utils_aot.py:88:39
	s_and_b64 s[2:3], s[12:13], s[20:21]
	.loc	1 89 21                         ; fp8_utils_aot.py:89:21
	s_and_saveexec_b64 s[0:1], s[2:3]
	s_cbranch_execz .LBB0_238
.LBB0_254:
	.loc	1 79 27                         ; fp8_utils_aot.py:79:27
	v_bfe_u32 v0, v75, 16, 1
	s_movk_i32 s2, 0x7fff
	v_add3_u32 v0, v75, v0, s2
	v_cmp_o_f32_e32 vcc, v75, v75
	v_mov_b32_e32 v1, 0x7fff
	v_cndmask_b32_sdwa v2, v1, v0, vcc dst_sel:DWORD dst_unused:UNUSED_PAD src0_sel:DWORD src1_sel:WORD_1
	.loc	1 87 48                         ; fp8_utils_aot.py:87:48
	v_add_co_u32_e32 v0, vcc, v32, v18
	v_addc_co_u32_e32 v1, vcc, v33, v19, vcc
	.loc	1 89 21                         ; fp8_utils_aot.py:89:21
	global_store_short v[0:1], v2, off
	s_or_b64 exec, exec, s[0:1]
	.loc	1 88 39                         ; fp8_utils_aot.py:88:39
	s_and_b64 s[2:3], s[12:13], s[22:23]
	.loc	1 89 21                         ; fp8_utils_aot.py:89:21
	s_and_saveexec_b64 s[0:1], s[2:3]
	s_cbranch_execz .LBB0_239
.LBB0_255:
	.loc	1 79 27                         ; fp8_utils_aot.py:79:27
	v_bfe_u32 v0, v72, 16, 1
	s_movk_i32 s2, 0x7fff
	v_add3_u32 v0, v72, v0, s2
	v_cmp_o_f32_e32 vcc, v72, v72
	v_mov_b32_e32 v1, 0x7fff
	v_cndmask_b32_sdwa v2, v1, v0, vcc dst_sel:DWORD dst_unused:UNUSED_PAD src0_sel:DWORD src1_sel:WORD_1
	.loc	1 87 48                         ; fp8_utils_aot.py:87:48
	v_add_co_u32_e32 v0, vcc, v32, v20
	v_addc_co_u32_e32 v1, vcc, v33, v21, vcc
	.loc	1 89 21                         ; fp8_utils_aot.py:89:21
	global_store_short v[0:1], v2, off
	s_or_b64 exec, exec, s[0:1]
	.loc	1 88 39                         ; fp8_utils_aot.py:88:39
	s_and_b64 s[2:3], s[12:13], s[24:25]
	.loc	1 89 21                         ; fp8_utils_aot.py:89:21
	s_and_saveexec_b64 s[0:1], s[2:3]
	s_cbranch_execz .LBB0_240
.LBB0_256:
	.loc	1 79 27                         ; fp8_utils_aot.py:79:27
	v_bfe_u32 v0, v73, 16, 1
	s_movk_i32 s2, 0x7fff
	v_add3_u32 v0, v73, v0, s2
	v_cmp_o_f32_e32 vcc, v73, v73
	v_mov_b32_e32 v1, 0x7fff
	v_cndmask_b32_sdwa v2, v1, v0, vcc dst_sel:DWORD dst_unused:UNUSED_PAD src0_sel:DWORD src1_sel:WORD_1
	.loc	1 87 48                         ; fp8_utils_aot.py:87:48
	v_add_co_u32_e32 v0, vcc, v32, v22
	v_addc_co_u32_e32 v1, vcc, v33, v23, vcc
	.loc	1 89 21                         ; fp8_utils_aot.py:89:21
	global_store_short v[0:1], v2, off
	s_or_b64 exec, exec, s[0:1]
	.loc	1 88 39                         ; fp8_utils_aot.py:88:39
	s_and_b64 s[2:3], s[12:13], s[26:27]
	.loc	1 89 21                         ; fp8_utils_aot.py:89:21
	s_and_saveexec_b64 s[0:1], s[2:3]
	s_cbranch_execz .LBB0_241
.LBB0_257:
	.loc	1 79 27                         ; fp8_utils_aot.py:79:27
	v_bfe_u32 v0, v70, 16, 1
	s_movk_i32 s2, 0x7fff
	v_add3_u32 v0, v70, v0, s2
	v_cmp_o_f32_e32 vcc, v70, v70
	v_mov_b32_e32 v1, 0x7fff
	v_cndmask_b32_sdwa v2, v1, v0, vcc dst_sel:DWORD dst_unused:UNUSED_PAD src0_sel:DWORD src1_sel:WORD_1
	.loc	1 87 48                         ; fp8_utils_aot.py:87:48
	v_add_co_u32_e32 v0, vcc, v32, v24
	v_addc_co_u32_e32 v1, vcc, v33, v25, vcc
	.loc	1 89 21                         ; fp8_utils_aot.py:89:21
	global_store_short v[0:1], v2, off
	s_or_b64 exec, exec, s[0:1]
	.loc	1 88 39                         ; fp8_utils_aot.py:88:39
	s_and_b64 s[2:3], s[12:13], s[28:29]
	.loc	1 89 21                         ; fp8_utils_aot.py:89:21
	s_and_saveexec_b64 s[0:1], s[2:3]
	s_cbranch_execz .LBB0_242
.LBB0_258:
	.loc	1 79 27                         ; fp8_utils_aot.py:79:27
	v_bfe_u32 v0, v71, 16, 1
	s_movk_i32 s2, 0x7fff
	v_add3_u32 v0, v71, v0, s2
	v_cmp_o_f32_e32 vcc, v71, v71
	v_mov_b32_e32 v1, 0x7fff
	v_cndmask_b32_sdwa v2, v1, v0, vcc dst_sel:DWORD dst_unused:UNUSED_PAD src0_sel:DWORD src1_sel:WORD_1
	.loc	1 87 48                         ; fp8_utils_aot.py:87:48
	v_add_co_u32_e32 v0, vcc, v32, v26
	v_addc_co_u32_e32 v1, vcc, v33, v27, vcc
	.loc	1 89 21                         ; fp8_utils_aot.py:89:21
	global_store_short v[0:1], v2, off
	s_or_b64 exec, exec, s[0:1]
	.loc	1 88 39                         ; fp8_utils_aot.py:88:39
	s_and_b64 s[2:3], s[12:13], s[30:31]
	.loc	1 89 21                         ; fp8_utils_aot.py:89:21
	s_and_saveexec_b64 s[0:1], s[2:3]
	s_cbranch_execz .LBB0_243
.LBB0_259:
	.loc	1 79 27                         ; fp8_utils_aot.py:79:27
	v_bfe_u32 v0, v68, 16, 1
	s_movk_i32 s2, 0x7fff
	v_add3_u32 v0, v68, v0, s2
	v_cmp_o_f32_e32 vcc, v68, v68
	v_mov_b32_e32 v1, 0x7fff
	v_cndmask_b32_sdwa v2, v1, v0, vcc dst_sel:DWORD dst_unused:UNUSED_PAD src0_sel:DWORD src1_sel:WORD_1
	.loc	1 87 48                         ; fp8_utils_aot.py:87:48
	v_add_co_u32_e32 v0, vcc, v32, v28
	v_addc_co_u32_e32 v1, vcc, v33, v29, vcc
	.loc	1 89 21                         ; fp8_utils_aot.py:89:21
	global_store_short v[0:1], v2, off
	s_or_b64 exec, exec, s[0:1]
	.loc	1 88 39                         ; fp8_utils_aot.py:88:39
	s_and_b64 s[0:1], s[12:13], s[34:35]
	.loc	1 89 21                         ; fp8_utils_aot.py:89:21
	s_and_saveexec_b64 s[2:3], s[0:1]
	s_cbranch_execz .LBB0_244
.LBB0_260:
	.loc	1 79 27                         ; fp8_utils_aot.py:79:27
	v_bfe_u32 v0, v69, 16, 1
	s_movk_i32 s0, 0x7fff
	v_add3_u32 v0, v69, v0, s0
	v_cmp_o_f32_e32 vcc, v69, v69
	v_mov_b32_e32 v1, 0x7fff
	v_cndmask_b32_sdwa v2, v1, v0, vcc dst_sel:DWORD dst_unused:UNUSED_PAD src0_sel:DWORD src1_sel:WORD_1
	.loc	1 87 48                         ; fp8_utils_aot.py:87:48
	v_add_co_u32_e32 v0, vcc, v32, v30
	v_addc_co_u32_e32 v1, vcc, v33, v31, vcc
	.loc	1 89 21                         ; fp8_utils_aot.py:89:21
	global_store_short v[0:1], v2, off
	.loc	1 89 4 is_stmt 0                ; fp8_utils_aot.py:89:4
	s_endpgm
.Ltmp18:
	.section	.rodata,"a",@progbits
	.p2align	6, 0x0
	.amdhsa_kernel _w8a8_triton_block_scaled_mm
		.amdhsa_group_segment_fixed_size 0
		.amdhsa_private_segment_fixed_size 0
		.amdhsa_kernarg_size 120
		.amdhsa_user_sgpr_count 16
		.amdhsa_user_sgpr_private_segment_buffer 1
		.amdhsa_user_sgpr_dispatch_ptr 0
		.amdhsa_user_sgpr_queue_ptr 0
		.amdhsa_user_sgpr_kernarg_segment_ptr 1
		.amdhsa_user_sgpr_dispatch_id 0
		.amdhsa_user_sgpr_flat_scratch_init 0
		.amdhsa_user_sgpr_kernarg_preload_length 10
		.amdhsa_user_sgpr_kernarg_preload_offset 0
		.amdhsa_user_sgpr_private_segment_size 0
		.amdhsa_uses_dynamic_stack 0
		.amdhsa_system_sgpr_private_segment_wavefront_offset 0
		.amdhsa_system_sgpr_workgroup_id_x 1
		.amdhsa_system_sgpr_workgroup_id_y 0
		.amdhsa_system_sgpr_workgroup_id_z 0
		.amdhsa_system_sgpr_workgroup_info 0
		.amdhsa_system_vgpr_workitem_id 0
		.amdhsa_next_free_vgpr 443
		.amdhsa_next_free_sgpr 96
		.amdhsa_accum_offset 256
		.amdhsa_reserve_vcc 1
		.amdhsa_reserve_flat_scratch 0
		.amdhsa_reserve_xnack_mask 1
		.amdhsa_float_round_mode_32 0
		.amdhsa_float_round_mode_16_64 0
		.amdhsa_float_denorm_mode_32 3
		.amdhsa_float_denorm_mode_16_64 3
		.amdhsa_dx10_clamp 1
		.amdhsa_ieee_mode 1
		.amdhsa_fp16_overflow 0
		.amdhsa_tg_split 0
		.amdhsa_exception_fp_ieee_invalid_op 0
		.amdhsa_exception_fp_denorm_src 0
		.amdhsa_exception_fp_ieee_div_zero 0
		.amdhsa_exception_fp_ieee_overflow 0
		.amdhsa_exception_fp_ieee_underflow 0
		.amdhsa_exception_fp_ieee_inexact 0
		.amdhsa_exception_int_div_zero 0
	.end_amdhsa_kernel
	.text
.Lfunc_end0:
	.size	_w8a8_triton_block_scaled_mm, .Lfunc_end0-_w8a8_triton_block_scaled_mm
	.cfi_endproc
                                        ; -- End function
	.set _w8a8_triton_block_scaled_mm.num_vgpr, 256
	.set _w8a8_triton_block_scaled_mm.num_agpr, 187
	.set _w8a8_triton_block_scaled_mm.numbered_sgpr, 96
	.set _w8a8_triton_block_scaled_mm.num_named_barrier, 0
	.set _w8a8_triton_block_scaled_mm.private_seg_size, 0
	.set _w8a8_triton_block_scaled_mm.uses_vcc, 1
	.set _w8a8_triton_block_scaled_mm.uses_flat_scratch, 0
	.set _w8a8_triton_block_scaled_mm.has_dyn_sized_stack, 0
	.set _w8a8_triton_block_scaled_mm.has_recursion, 0
	.set _w8a8_triton_block_scaled_mm.has_indirect_call, 0
	.section	.AMDGPU.csdata,"",@progbits
; Kernel info:
; codeLenInByte = 61492
; TotalNumSgprs: 100
; NumVgprs: 256
; NumAgprs: 187
; TotalNumVgprs: 443
; ScratchSize: 0
; MemoryBound: 0
; FloatMode: 240
; IeeeMode: 1
; LDSByteSize: 0 bytes/workgroup (compile time only)
; SGPRBlocks: 12
; VGPRBlocks: 55
; NumSGPRsForWavesPerEU: 100
; NumVGPRsForWavesPerEU: 443
; AccumOffset: 256
; Occupancy: 1
; WaveLimiterHint : 0
; COMPUTE_PGM_RSRC2:SCRATCH_EN: 0
; COMPUTE_PGM_RSRC2:USER_SGPR: 16
; COMPUTE_PGM_RSRC2:TRAP_HANDLER: 0
; COMPUTE_PGM_RSRC2:TGID_X_EN: 1
; COMPUTE_PGM_RSRC2:TGID_Y_EN: 0
; COMPUTE_PGM_RSRC2:TGID_Z_EN: 0
; COMPUTE_PGM_RSRC2:TIDIG_COMP_CNT: 0
; COMPUTE_PGM_RSRC3_GFX90A:ACCUM_OFFSET: 63
; COMPUTE_PGM_RSRC3_GFX90A:TG_SPLIT: 0
	.text
	.p2alignl 6, 3212836864
	.fill 256, 4, 3212836864
	.section	.AMDGPU.gpr_maximums,"",@progbits
	.set amdgpu.max_num_vgpr, 0
	.set amdgpu.max_num_agpr, 0
	.set amdgpu.max_num_sgpr, 0
	.set amdgpu.max_num_named_barrier, 0
	.text
	.section	.debug_abbrev,"",@progbits
	.byte	1                               ; Abbreviation Code
	.byte	17                              ; DW_TAG_compile_unit
	.byte	1                               ; DW_CHILDREN_yes
	.byte	37                              ; DW_AT_producer
	.byte	14                              ; DW_FORM_strp
	.byte	19                              ; DW_AT_language
	.byte	5                               ; DW_FORM_data2
	.byte	3                               ; DW_AT_name
	.byte	14                              ; DW_FORM_strp
	.byte	16                              ; DW_AT_stmt_list
	.byte	23                              ; DW_FORM_sec_offset
	.byte	27                              ; DW_AT_comp_dir
	.byte	14                              ; DW_FORM_strp
	.byte	17                              ; DW_AT_low_pc
	.byte	1                               ; DW_FORM_addr
	.byte	18                              ; DW_AT_high_pc
	.byte	6                               ; DW_FORM_data4
	.byte	0                               ; EOM(1)
	.byte	0                               ; EOM(2)
	.byte	2                               ; Abbreviation Code
	.byte	46                              ; DW_TAG_subprogram
	.byte	0                               ; DW_CHILDREN_no
	.byte	3                               ; DW_AT_name
	.byte	14                              ; DW_FORM_strp
	.byte	32                              ; DW_AT_inline
	.byte	11                              ; DW_FORM_data1
	.byte	0                               ; EOM(1)
	.byte	0                               ; EOM(2)
	.byte	3                               ; Abbreviation Code
	.byte	46                              ; DW_TAG_subprogram
	.byte	1                               ; DW_CHILDREN_yes
	.byte	17                              ; DW_AT_low_pc
	.byte	1                               ; DW_FORM_addr
	.byte	18                              ; DW_AT_high_pc
	.byte	6                               ; DW_FORM_data4
	.byte	49                              ; DW_AT_abstract_origin
	.byte	19                              ; DW_FORM_ref4
	.byte	0                               ; EOM(1)
	.byte	0                               ; EOM(2)
	.byte	4                               ; Abbreviation Code
	.byte	29                              ; DW_TAG_inlined_subroutine
	.byte	0                               ; DW_CHILDREN_no
	.byte	49                              ; DW_AT_abstract_origin
	.byte	19                              ; DW_FORM_ref4
	.byte	17                              ; DW_AT_low_pc
	.byte	1                               ; DW_FORM_addr
	.byte	18                              ; DW_AT_high_pc
	.byte	6                               ; DW_FORM_data4
	.byte	88                              ; DW_AT_call_file
	.byte	11                              ; DW_FORM_data1
	.byte	89                              ; DW_AT_call_line
	.byte	11                              ; DW_FORM_data1
	.byte	87                              ; DW_AT_call_column
	.byte	11                              ; DW_FORM_data1
	.byte	0                               ; EOM(1)
	.byte	0                               ; EOM(2)
	.byte	5                               ; Abbreviation Code
	.byte	29                              ; DW_TAG_inlined_subroutine
	.byte	0                               ; DW_CHILDREN_no
	.byte	49                              ; DW_AT_abstract_origin
	.byte	19                              ; DW_FORM_ref4
	.byte	85                              ; DW_AT_ranges
	.byte	23                              ; DW_FORM_sec_offset
	.byte	88                              ; DW_AT_call_file
	.byte	11                              ; DW_FORM_data1
	.byte	89                              ; DW_AT_call_line
	.byte	11                              ; DW_FORM_data1
	.byte	87                              ; DW_AT_call_column
	.byte	11                              ; DW_FORM_data1
	.byte	0                               ; EOM(1)
	.byte	0                               ; EOM(2)
	;; [unrolled: 1-line block ×3, first 2 shown]
	.section	.debug_info,"",@progbits
.Lcu_begin0:
	.long	.Ldebug_info_end0-.Ldebug_info_start0 ; Length of Unit
.Ldebug_info_start0:
	.short	4                               ; DWARF version number
	.long	.debug_abbrev                   ; Offset Into Abbrev. Section
	.byte	8                               ; Address Size (in bytes)
	.byte	1                               ; Abbrev [1] 0xb:0x64 DW_TAG_compile_unit
	.long	.Linfo_string0                  ; DW_AT_producer
	.short	2                               ; DW_AT_language
	.long	.Linfo_string1                  ; DW_AT_name
	.long	.Lline_table_start0             ; DW_AT_stmt_list
	.long	.Linfo_string2                  ; DW_AT_comp_dir
	.quad	.Lfunc_begin0                   ; DW_AT_low_pc
	.long	.Lfunc_end0-.Lfunc_begin0       ; DW_AT_high_pc
	.byte	2                               ; Abbrev [2] 0x2a:0x6 DW_TAG_subprogram
	.long	.Linfo_string3                  ; DW_AT_name
	.byte	1                               ; DW_AT_inline
	.byte	3                               ; Abbrev [3] 0x30:0x3e DW_TAG_subprogram
	.quad	.Lfunc_begin0                   ; DW_AT_low_pc
	.long	.Lfunc_end0-.Lfunc_begin0       ; DW_AT_high_pc
	.long	42                              ; DW_AT_abstract_origin
	.byte	4                               ; Abbrev [4] 0x41:0x14 DW_TAG_inlined_subroutine
	.long	42                              ; DW_AT_abstract_origin
	.quad	.Ltmp2                          ; DW_AT_low_pc
	.long	.Ltmp3-.Ltmp2                   ; DW_AT_high_pc
	.byte	1                               ; DW_AT_call_file
	.byte	46                              ; DW_AT_call_line
	.byte	27                              ; DW_AT_call_column
	.byte	5                               ; Abbrev [5] 0x55:0xc DW_TAG_inlined_subroutine
	.long	42                              ; DW_AT_abstract_origin
	.long	.Ldebug_ranges0                 ; DW_AT_ranges
	.byte	1                               ; DW_AT_call_file
	.byte	45                              ; DW_AT_call_line
	.byte	27                              ; DW_AT_call_column
	.byte	5                               ; Abbrev [5] 0x61:0xc DW_TAG_inlined_subroutine
	.long	42                              ; DW_AT_abstract_origin
	.long	.Ldebug_ranges1                 ; DW_AT_ranges
	.byte	1                               ; DW_AT_call_file
	.byte	65                              ; DW_AT_call_line
	.byte	33                              ; DW_AT_call_column
	.byte	0                               ; End Of Children Mark
	.byte	0                               ; End Of Children Mark
.Ldebug_info_end0:
	.section	.debug_ranges,"",@progbits
.Ldebug_ranges0:
	.quad	.Ltmp4-.Lfunc_begin0
	.quad	.Ltmp5-.Lfunc_begin0
	;; [unrolled: 1-line block ×6, first 2 shown]
	.quad	0
	.quad	0
.Ldebug_ranges1:
	.quad	.Ltmp10-.Lfunc_begin0
	.quad	.Ltmp11-.Lfunc_begin0
	;; [unrolled: 1-line block ×8, first 2 shown]
	.quad	0
	.quad	0
	.section	.debug_str,"MS",@progbits,1
.Linfo_string0:
	.asciz	"triton"                        ; string offset=0
.Linfo_string1:
	.asciz	"fp8_utils_aot.py"              ; string offset=7
.Linfo_string2:
	.asciz	"/root/src/amdgpu-assembly/repos/vllm-project__vllm/triton_aot_kernels" ; string offset=24
.Linfo_string3:
	.asciz	"_w8a8_triton_block_scaled_mm"  ; string offset=94
	.section	".note.GNU-stack","",@progbits
	.amdgpu_metadata
---
amdhsa.kernels:
  - .agpr_count:     187
    .args:
      - .address_space:  global
        .offset:         0
        .size:           8
        .value_kind:     global_buffer
      - .address_space:  global
        .offset:         8
        .size:           8
        .value_kind:     global_buffer
      - .address_space:  global
        .offset:         16
        .size:           8
        .value_kind:     global_buffer
      - .address_space:  global
        .offset:         24
        .size:           8
        .value_kind:     global_buffer
      - .address_space:  global
        .offset:         32
        .size:           8
        .value_kind:     global_buffer
      - .offset:         40
        .size:           4
        .value_kind:     by_value
      - .offset:         44
        .size:           4
        .value_kind:     by_value
      - .offset:         48
        .size:           4
        .value_kind:     by_value
      - .offset:         52
        .size:           4
        .value_kind:     by_value
      - .offset:         56
        .size:           4
        .value_kind:     by_value
      - .offset:         60
        .size:           4
        .value_kind:     by_value
      - .offset:         64
        .size:           4
        .value_kind:     by_value
      - .offset:         68
        .size:           4
        .value_kind:     by_value
      - .offset:         72
        .size:           4
        .value_kind:     by_value
      - .offset:         76
        .size:           4
        .value_kind:     by_value
      - .offset:         80
        .size:           4
        .value_kind:     by_value
      - .offset:         84
        .size:           4
        .value_kind:     by_value
      - .offset:         88
        .size:           4
        .value_kind:     by_value
      - .offset:         92
        .size:           4
        .value_kind:     by_value
      - .offset:         96
        .size:           4
        .value_kind:     by_value
      - .address_space:  global
        .offset:         104
        .size:           8
        .value_kind:     global_buffer
      - .address_space:  global
        .offset:         112
        .size:           8
        .value_kind:     global_buffer
    .group_segment_fixed_size: 0
    .kernarg_segment_align: 8
    .kernarg_segment_size: 120
    .max_flat_workgroup_size: 256
    .name:           _w8a8_triton_block_scaled_mm
    .private_segment_fixed_size: 0
    .sgpr_count:     100
    .sgpr_spill_count: 288
    .symbol:         _w8a8_triton_block_scaled_mm.kd
    .uniform_work_group_size: 1
    .uses_dynamic_stack: false
    .vgpr_count:     443
    .vgpr_spill_count: 0
    .wavefront_size: 64
amdhsa.target:   amdgcn-amd-amdhsa--gfx90a
amdhsa.version:
  - 1
  - 2
...

	.end_amdgpu_metadata
	.section	.debug_line,"",@progbits
.Lline_table_start0:
